;; amdgpu-corpus repo=ROCm/rocSOLVER kind=compiled arch=gfx1030 opt=O3
	.amdgcn_target "amdgcn-amd-amdhsa--gfx1030"
	.amdhsa_code_object_version 6
	.text
	.p2align	2                               ; -- Begin function __ockl_fprintf_append_string_n
	.type	__ockl_fprintf_append_string_n,@function
__ockl_fprintf_append_string_n:         ; @__ockl_fprintf_append_string_n
; %bb.0:
	s_waitcnt vmcnt(0) expcnt(0) lgkmcnt(0)
	v_mov_b32_e32 v7, v2
	v_or_b32_e32 v2, 2, v0
	v_cmp_eq_u32_e32 vcc_lo, 0, v6
	v_mov_b32_e32 v8, v3
	v_mbcnt_lo_u32_b32 v33, -1, 0
	s_mov_b32 s15, 0
	s_mov_b32 s4, exec_lo
	v_cndmask_b32_e32 v0, v2, v0, vcc_lo
	v_cmpx_ne_u64_e32 0, v[7:8]
	s_xor_b32 s14, exec_lo, s4
	s_cbranch_execz .LBB0_86
; %bb.1:
	s_load_dwordx2 s[6:7], s[8:9], 0x50
	v_and_b32_e32 v6, 2, v0
	v_mov_b32_e32 v10, 0
	v_and_b32_e32 v0, -3, v0
	v_mov_b32_e32 v11, 2
	v_mov_b32_e32 v12, 1
	s_mov_b32 s16, 0
	s_branch .LBB0_3
.LBB0_2:                                ;   in Loop: Header=BB0_3 Depth=1
	s_or_b32 exec_lo, exec_lo, s12
	v_sub_co_u32 v4, vcc_lo, v4, v29
	v_sub_co_ci_u32_e64 v5, null, v5, v30, vcc_lo
	v_add_co_u32 v7, s4, v7, v29
	v_add_co_ci_u32_e64 v8, null, v8, v30, s4
	v_cmp_eq_u64_e32 vcc_lo, 0, v[4:5]
	s_or_b32 s16, vcc_lo, s16
	s_andn2_b32 exec_lo, exec_lo, s16
	s_cbranch_execz .LBB0_85
.LBB0_3:                                ; =>This Loop Header: Depth=1
                                        ;     Child Loop BB0_6 Depth 2
                                        ;     Child Loop BB0_14 Depth 2
	;; [unrolled: 1-line block ×11, first 2 shown]
	v_cmp_gt_u64_e32 vcc_lo, 56, v[4:5]
	s_mov_b32 s5, exec_lo
	v_cndmask_b32_e32 v30, 0, v5, vcc_lo
	v_cndmask_b32_e32 v29, 56, v4, vcc_lo
	v_add_co_u32 v15, vcc_lo, v7, 8
	v_add_co_ci_u32_e64 v16, null, 0, v8, vcc_lo
	v_cmpx_gt_u64_e32 8, v[4:5]
	s_xor_b32 s5, exec_lo, s5
	s_cbranch_execz .LBB0_9
; %bb.4:                                ;   in Loop: Header=BB0_3 Depth=1
	s_waitcnt vmcnt(0)
	v_mov_b32_e32 v2, 0
	v_mov_b32_e32 v3, 0
	s_mov_b32 s12, exec_lo
	v_cmpx_ne_u64_e32 0, v[4:5]
	s_cbranch_execz .LBB0_8
; %bb.5:                                ;   in Loop: Header=BB0_3 Depth=1
	v_lshlrev_b64 v[13:14], 3, v[29:30]
	v_mov_b32_e32 v2, 0
	v_mov_b32_e32 v15, v8
	;; [unrolled: 1-line block ×4, first 2 shown]
	s_mov_b64 s[10:11], 0
	s_mov_b32 s13, 0
	.p2align	6
.LBB0_6:                                ;   Parent Loop BB0_3 Depth=1
                                        ; =>  This Inner Loop Header: Depth=2
	global_load_ubyte v9, v[14:15], off
	v_mov_b32_e32 v17, s15
	v_add_co_u32 v14, vcc_lo, v14, 1
	v_add_co_ci_u32_e64 v15, null, 0, v15, vcc_lo
	s_waitcnt vmcnt(0)
	v_and_b32_e32 v16, 0xffff, v9
	v_lshlrev_b64 v[16:17], s10, v[16:17]
	s_add_u32 s10, s10, 8
	s_addc_u32 s11, s11, 0
	v_cmp_eq_u32_e64 s4, s10, v13
	v_or_b32_e32 v3, v17, v3
	v_or_b32_e32 v2, v16, v2
	s_or_b32 s13, s4, s13
	s_andn2_b32 exec_lo, exec_lo, s13
	s_cbranch_execnz .LBB0_6
; %bb.7:                                ;   in Loop: Header=BB0_3 Depth=1
	s_or_b32 exec_lo, exec_lo, s13
.LBB0_8:                                ;   in Loop: Header=BB0_3 Depth=1
	s_or_b32 exec_lo, exec_lo, s12
	v_mov_b32_e32 v16, v8
	v_mov_b32_e32 v15, v7
.LBB0_9:                                ;   in Loop: Header=BB0_3 Depth=1
	s_or_saveexec_b32 s4, s5
	v_mov_b32_e32 v9, 0
	s_xor_b32 exec_lo, exec_lo, s4
	s_cbranch_execz .LBB0_11
; %bb.10:                               ;   in Loop: Header=BB0_3 Depth=1
	global_load_dwordx2 v[2:3], v[7:8], off
	v_add_nc_u32_e32 v9, -8, v29
.LBB0_11:                               ;   in Loop: Header=BB0_3 Depth=1
	s_or_b32 exec_lo, exec_lo, s4
	v_add_co_u32 v17, s4, v15, 8
	v_add_co_ci_u32_e64 v18, null, 0, v16, s4
                                        ; implicit-def: $vgpr13_vgpr14
	s_mov_b32 s4, exec_lo
	v_cmpx_gt_u32_e32 8, v9
	s_xor_b32 s12, exec_lo, s4
	s_cbranch_execz .LBB0_17
; %bb.12:                               ;   in Loop: Header=BB0_3 Depth=1
	v_mov_b32_e32 v13, 0
	v_mov_b32_e32 v14, 0
	s_mov_b32 s13, exec_lo
	v_cmpx_ne_u32_e32 0, v9
	s_cbranch_execz .LBB0_16
; %bb.13:                               ;   in Loop: Header=BB0_3 Depth=1
	v_mov_b32_e32 v13, 0
	v_mov_b32_e32 v14, 0
	s_mov_b64 s[4:5], 0
	s_mov_b32 s17, 0
	s_mov_b64 s[10:11], 0
	.p2align	6
.LBB0_14:                               ;   Parent Loop BB0_3 Depth=1
                                        ; =>  This Inner Loop Header: Depth=2
	v_add_co_u32 v17, vcc_lo, v15, s10
	v_add_co_ci_u32_e64 v18, null, s11, v16, vcc_lo
	s_add_u32 s10, s10, 1
	s_addc_u32 s11, s11, 0
	v_cmp_eq_u32_e32 vcc_lo, s10, v9
	global_load_ubyte v17, v[17:18], off
	v_mov_b32_e32 v18, s15
	s_waitcnt vmcnt(0)
	v_and_b32_e32 v17, 0xffff, v17
	v_lshlrev_b64 v[17:18], s4, v[17:18]
	s_add_u32 s4, s4, 8
	s_addc_u32 s5, s5, 0
	s_or_b32 s17, vcc_lo, s17
	v_or_b32_e32 v14, v18, v14
	v_or_b32_e32 v13, v17, v13
	s_andn2_b32 exec_lo, exec_lo, s17
	s_cbranch_execnz .LBB0_14
; %bb.15:                               ;   in Loop: Header=BB0_3 Depth=1
	s_or_b32 exec_lo, exec_lo, s17
.LBB0_16:                               ;   in Loop: Header=BB0_3 Depth=1
	s_or_b32 exec_lo, exec_lo, s13
	v_mov_b32_e32 v18, v16
	v_mov_b32_e32 v17, v15
                                        ; implicit-def: $vgpr9
.LBB0_17:                               ;   in Loop: Header=BB0_3 Depth=1
	s_or_saveexec_b32 s4, s12
	v_mov_b32_e32 v21, 0
	s_xor_b32 exec_lo, exec_lo, s4
	s_cbranch_execz .LBB0_19
; %bb.18:                               ;   in Loop: Header=BB0_3 Depth=1
	global_load_dwordx2 v[13:14], v[15:16], off
	v_add_nc_u32_e32 v21, -8, v9
.LBB0_19:                               ;   in Loop: Header=BB0_3 Depth=1
	s_or_b32 exec_lo, exec_lo, s4
	v_add_co_u32 v19, s4, v17, 8
	v_add_co_ci_u32_e64 v20, null, 0, v18, s4
	s_mov_b32 s4, exec_lo
	v_cmpx_gt_u32_e32 8, v21
	s_xor_b32 s12, exec_lo, s4
	s_cbranch_execz .LBB0_25
; %bb.20:                               ;   in Loop: Header=BB0_3 Depth=1
	v_mov_b32_e32 v15, 0
	v_mov_b32_e32 v16, 0
	s_mov_b32 s13, exec_lo
	v_cmpx_ne_u32_e32 0, v21
	s_cbranch_execz .LBB0_24
; %bb.21:                               ;   in Loop: Header=BB0_3 Depth=1
	v_mov_b32_e32 v15, 0
	v_mov_b32_e32 v16, 0
	s_mov_b64 s[4:5], 0
	s_mov_b32 s17, 0
	s_mov_b64 s[10:11], 0
	.p2align	6
.LBB0_22:                               ;   Parent Loop BB0_3 Depth=1
                                        ; =>  This Inner Loop Header: Depth=2
	v_add_co_u32 v19, vcc_lo, v17, s10
	v_add_co_ci_u32_e64 v20, null, s11, v18, vcc_lo
	s_add_u32 s10, s10, 1
	s_addc_u32 s11, s11, 0
	v_cmp_eq_u32_e32 vcc_lo, s10, v21
	global_load_ubyte v9, v[19:20], off
	v_mov_b32_e32 v20, s15
	s_waitcnt vmcnt(0)
	v_and_b32_e32 v19, 0xffff, v9
	v_lshlrev_b64 v[19:20], s4, v[19:20]
	s_add_u32 s4, s4, 8
	s_addc_u32 s5, s5, 0
	s_or_b32 s17, vcc_lo, s17
	v_or_b32_e32 v16, v20, v16
	v_or_b32_e32 v15, v19, v15
	s_andn2_b32 exec_lo, exec_lo, s17
	s_cbranch_execnz .LBB0_22
; %bb.23:                               ;   in Loop: Header=BB0_3 Depth=1
	s_or_b32 exec_lo, exec_lo, s17
.LBB0_24:                               ;   in Loop: Header=BB0_3 Depth=1
	s_or_b32 exec_lo, exec_lo, s13
	v_mov_b32_e32 v20, v18
	v_mov_b32_e32 v19, v17
                                        ; implicit-def: $vgpr21
.LBB0_25:                               ;   in Loop: Header=BB0_3 Depth=1
	s_or_saveexec_b32 s4, s12
	v_mov_b32_e32 v9, 0
	s_xor_b32 exec_lo, exec_lo, s4
	s_cbranch_execz .LBB0_27
; %bb.26:                               ;   in Loop: Header=BB0_3 Depth=1
	global_load_dwordx2 v[15:16], v[17:18], off
	v_add_nc_u32_e32 v9, -8, v21
.LBB0_27:                               ;   in Loop: Header=BB0_3 Depth=1
	s_or_b32 exec_lo, exec_lo, s4
	v_add_co_u32 v21, s4, v19, 8
	v_add_co_ci_u32_e64 v22, null, 0, v20, s4
                                        ; implicit-def: $vgpr17_vgpr18
	s_mov_b32 s4, exec_lo
	v_cmpx_gt_u32_e32 8, v9
	s_xor_b32 s12, exec_lo, s4
	s_cbranch_execz .LBB0_33
; %bb.28:                               ;   in Loop: Header=BB0_3 Depth=1
	v_mov_b32_e32 v17, 0
	v_mov_b32_e32 v18, 0
	s_mov_b32 s13, exec_lo
	v_cmpx_ne_u32_e32 0, v9
	s_cbranch_execz .LBB0_32
; %bb.29:                               ;   in Loop: Header=BB0_3 Depth=1
	v_mov_b32_e32 v17, 0
	v_mov_b32_e32 v18, 0
	s_mov_b64 s[4:5], 0
	s_mov_b32 s17, 0
	s_mov_b64 s[10:11], 0
	.p2align	6
.LBB0_30:                               ;   Parent Loop BB0_3 Depth=1
                                        ; =>  This Inner Loop Header: Depth=2
	v_add_co_u32 v21, vcc_lo, v19, s10
	v_add_co_ci_u32_e64 v22, null, s11, v20, vcc_lo
	s_add_u32 s10, s10, 1
	s_addc_u32 s11, s11, 0
	v_cmp_eq_u32_e32 vcc_lo, s10, v9
	global_load_ubyte v21, v[21:22], off
	v_mov_b32_e32 v22, s15
	s_waitcnt vmcnt(0)
	v_and_b32_e32 v21, 0xffff, v21
	v_lshlrev_b64 v[21:22], s4, v[21:22]
	s_add_u32 s4, s4, 8
	s_addc_u32 s5, s5, 0
	s_or_b32 s17, vcc_lo, s17
	v_or_b32_e32 v18, v22, v18
	v_or_b32_e32 v17, v21, v17
	s_andn2_b32 exec_lo, exec_lo, s17
	s_cbranch_execnz .LBB0_30
; %bb.31:                               ;   in Loop: Header=BB0_3 Depth=1
	s_or_b32 exec_lo, exec_lo, s17
.LBB0_32:                               ;   in Loop: Header=BB0_3 Depth=1
	s_or_b32 exec_lo, exec_lo, s13
	v_mov_b32_e32 v22, v20
	v_mov_b32_e32 v21, v19
                                        ; implicit-def: $vgpr9
.LBB0_33:                               ;   in Loop: Header=BB0_3 Depth=1
	s_or_saveexec_b32 s4, s12
	v_mov_b32_e32 v25, 0
	s_xor_b32 exec_lo, exec_lo, s4
	s_cbranch_execz .LBB0_35
; %bb.34:                               ;   in Loop: Header=BB0_3 Depth=1
	global_load_dwordx2 v[17:18], v[19:20], off
	v_add_nc_u32_e32 v25, -8, v9
.LBB0_35:                               ;   in Loop: Header=BB0_3 Depth=1
	s_or_b32 exec_lo, exec_lo, s4
	v_add_co_u32 v23, s4, v21, 8
	v_add_co_ci_u32_e64 v24, null, 0, v22, s4
	s_mov_b32 s4, exec_lo
	v_cmpx_gt_u32_e32 8, v25
	s_xor_b32 s12, exec_lo, s4
	s_cbranch_execz .LBB0_41
; %bb.36:                               ;   in Loop: Header=BB0_3 Depth=1
	v_mov_b32_e32 v19, 0
	v_mov_b32_e32 v20, 0
	s_mov_b32 s13, exec_lo
	v_cmpx_ne_u32_e32 0, v25
	s_cbranch_execz .LBB0_40
; %bb.37:                               ;   in Loop: Header=BB0_3 Depth=1
	v_mov_b32_e32 v19, 0
	v_mov_b32_e32 v20, 0
	s_mov_b64 s[4:5], 0
	s_mov_b32 s17, 0
	s_mov_b64 s[10:11], 0
	.p2align	6
.LBB0_38:                               ;   Parent Loop BB0_3 Depth=1
                                        ; =>  This Inner Loop Header: Depth=2
	v_add_co_u32 v23, vcc_lo, v21, s10
	v_add_co_ci_u32_e64 v24, null, s11, v22, vcc_lo
	s_add_u32 s10, s10, 1
	s_addc_u32 s11, s11, 0
	v_cmp_eq_u32_e32 vcc_lo, s10, v25
	global_load_ubyte v9, v[23:24], off
	v_mov_b32_e32 v24, s15
	s_waitcnt vmcnt(0)
	v_and_b32_e32 v23, 0xffff, v9
	v_lshlrev_b64 v[23:24], s4, v[23:24]
	s_add_u32 s4, s4, 8
	s_addc_u32 s5, s5, 0
	s_or_b32 s17, vcc_lo, s17
	v_or_b32_e32 v20, v24, v20
	v_or_b32_e32 v19, v23, v19
	s_andn2_b32 exec_lo, exec_lo, s17
	s_cbranch_execnz .LBB0_38
; %bb.39:                               ;   in Loop: Header=BB0_3 Depth=1
	s_or_b32 exec_lo, exec_lo, s17
.LBB0_40:                               ;   in Loop: Header=BB0_3 Depth=1
	s_or_b32 exec_lo, exec_lo, s13
	v_mov_b32_e32 v24, v22
	v_mov_b32_e32 v23, v21
                                        ; implicit-def: $vgpr25
.LBB0_41:                               ;   in Loop: Header=BB0_3 Depth=1
	s_or_saveexec_b32 s4, s12
	v_mov_b32_e32 v9, 0
	s_xor_b32 exec_lo, exec_lo, s4
	s_cbranch_execz .LBB0_43
; %bb.42:                               ;   in Loop: Header=BB0_3 Depth=1
	global_load_dwordx2 v[19:20], v[21:22], off
	v_add_nc_u32_e32 v9, -8, v25
.LBB0_43:                               ;   in Loop: Header=BB0_3 Depth=1
	s_or_b32 exec_lo, exec_lo, s4
	v_add_co_u32 v25, s4, v23, 8
	v_add_co_ci_u32_e64 v26, null, 0, v24, s4
                                        ; implicit-def: $vgpr21_vgpr22
	s_mov_b32 s4, exec_lo
	v_cmpx_gt_u32_e32 8, v9
	s_xor_b32 s12, exec_lo, s4
	s_cbranch_execz .LBB0_49
; %bb.44:                               ;   in Loop: Header=BB0_3 Depth=1
	v_mov_b32_e32 v21, 0
	v_mov_b32_e32 v22, 0
	s_mov_b32 s13, exec_lo
	v_cmpx_ne_u32_e32 0, v9
	s_cbranch_execz .LBB0_48
; %bb.45:                               ;   in Loop: Header=BB0_3 Depth=1
	v_mov_b32_e32 v21, 0
	v_mov_b32_e32 v22, 0
	s_mov_b64 s[4:5], 0
	s_mov_b32 s17, 0
	s_mov_b64 s[10:11], 0
	.p2align	6
.LBB0_46:                               ;   Parent Loop BB0_3 Depth=1
                                        ; =>  This Inner Loop Header: Depth=2
	v_add_co_u32 v25, vcc_lo, v23, s10
	v_add_co_ci_u32_e64 v26, null, s11, v24, vcc_lo
	s_add_u32 s10, s10, 1
	s_addc_u32 s11, s11, 0
	v_cmp_eq_u32_e32 vcc_lo, s10, v9
	global_load_ubyte v25, v[25:26], off
	v_mov_b32_e32 v26, s15
	s_waitcnt vmcnt(0)
	v_and_b32_e32 v25, 0xffff, v25
	v_lshlrev_b64 v[25:26], s4, v[25:26]
	s_add_u32 s4, s4, 8
	s_addc_u32 s5, s5, 0
	s_or_b32 s17, vcc_lo, s17
	v_or_b32_e32 v22, v26, v22
	v_or_b32_e32 v21, v25, v21
	s_andn2_b32 exec_lo, exec_lo, s17
	s_cbranch_execnz .LBB0_46
; %bb.47:                               ;   in Loop: Header=BB0_3 Depth=1
	s_or_b32 exec_lo, exec_lo, s17
.LBB0_48:                               ;   in Loop: Header=BB0_3 Depth=1
	s_or_b32 exec_lo, exec_lo, s13
	v_mov_b32_e32 v26, v24
	v_mov_b32_e32 v25, v23
                                        ; implicit-def: $vgpr9
.LBB0_49:                               ;   in Loop: Header=BB0_3 Depth=1
	s_or_saveexec_b32 s4, s12
	v_mov_b32_e32 v27, 0
	s_xor_b32 exec_lo, exec_lo, s4
	s_cbranch_execz .LBB0_51
; %bb.50:                               ;   in Loop: Header=BB0_3 Depth=1
	global_load_dwordx2 v[21:22], v[23:24], off
	v_add_nc_u32_e32 v27, -8, v9
.LBB0_51:                               ;   in Loop: Header=BB0_3 Depth=1
	s_or_b32 exec_lo, exec_lo, s4
	s_mov_b32 s4, exec_lo
	v_cmpx_gt_u32_e32 8, v27
	s_xor_b32 s10, exec_lo, s4
	s_cbranch_execz .LBB0_57
; %bb.52:                               ;   in Loop: Header=BB0_3 Depth=1
	v_mov_b32_e32 v23, 0
	v_mov_b32_e32 v24, 0
	s_mov_b32 s11, exec_lo
	v_cmpx_ne_u32_e32 0, v27
	s_cbranch_execz .LBB0_56
; %bb.53:                               ;   in Loop: Header=BB0_3 Depth=1
	v_mov_b32_e32 v23, 0
	v_mov_b32_e32 v24, 0
	s_mov_b64 s[4:5], 0
	s_mov_b32 s12, 0
	.p2align	6
.LBB0_54:                               ;   Parent Loop BB0_3 Depth=1
                                        ; =>  This Inner Loop Header: Depth=2
	global_load_ubyte v9, v[25:26], off
	v_mov_b32_e32 v32, s15
	v_add_nc_u32_e32 v27, -1, v27
	v_add_co_u32 v25, vcc_lo, v25, 1
	v_add_co_ci_u32_e64 v26, null, 0, v26, vcc_lo
	v_cmp_eq_u32_e32 vcc_lo, 0, v27
	s_waitcnt vmcnt(0)
	v_and_b32_e32 v31, 0xffff, v9
	v_lshlrev_b64 v[31:32], s4, v[31:32]
	s_add_u32 s4, s4, 8
	s_addc_u32 s5, s5, 0
	s_or_b32 s12, vcc_lo, s12
	v_or_b32_e32 v24, v32, v24
	v_or_b32_e32 v23, v31, v23
	s_andn2_b32 exec_lo, exec_lo, s12
	s_cbranch_execnz .LBB0_54
; %bb.55:                               ;   in Loop: Header=BB0_3 Depth=1
	s_or_b32 exec_lo, exec_lo, s12
.LBB0_56:                               ;   in Loop: Header=BB0_3 Depth=1
	s_or_b32 exec_lo, exec_lo, s11
                                        ; implicit-def: $vgpr25_vgpr26
.LBB0_57:                               ;   in Loop: Header=BB0_3 Depth=1
	s_andn2_saveexec_b32 s4, s10
	s_cbranch_execz .LBB0_59
; %bb.58:                               ;   in Loop: Header=BB0_3 Depth=1
	global_load_dwordx2 v[23:24], v[25:26], off
.LBB0_59:                               ;   in Loop: Header=BB0_3 Depth=1
	s_or_b32 exec_lo, exec_lo, s4
	v_readfirstlane_b32 s4, v33
	v_mov_b32_e32 v31, 0
	v_mov_b32_e32 v32, 0
	v_cmp_eq_u32_e64 s4, s4, v33
	s_and_saveexec_b32 s5, s4
	s_cbranch_execz .LBB0_65
; %bb.60:                               ;   in Loop: Header=BB0_3 Depth=1
	s_waitcnt lgkmcnt(0)
	global_load_dwordx2 v[27:28], v10, s[6:7] offset:24 glc dlc
	s_waitcnt vmcnt(0)
	buffer_gl1_inv
	buffer_gl0_inv
	s_clause 0x1
	global_load_dwordx2 v[25:26], v10, s[6:7] offset:40
	global_load_dwordx2 v[31:32], v10, s[6:7]
	s_mov_b32 s10, exec_lo
	s_waitcnt vmcnt(1)
	v_and_b32_e32 v9, v26, v28
	v_and_b32_e32 v25, v25, v27
	v_mul_lo_u32 v9, v9, 24
	v_mul_hi_u32 v26, v25, 24
	v_mul_lo_u32 v25, v25, 24
	v_add_nc_u32_e32 v9, v26, v9
	s_waitcnt vmcnt(0)
	v_add_co_u32 v25, vcc_lo, v31, v25
	v_add_co_ci_u32_e64 v26, null, v32, v9, vcc_lo
	global_load_dwordx2 v[25:26], v[25:26], off glc dlc
	s_waitcnt vmcnt(0)
	global_atomic_cmpswap_x2 v[31:32], v10, v[25:28], s[6:7] offset:24 glc
	s_waitcnt vmcnt(0)
	buffer_gl1_inv
	buffer_gl0_inv
	v_cmpx_ne_u64_e64 v[31:32], v[27:28]
	s_cbranch_execz .LBB0_64
; %bb.61:                               ;   in Loop: Header=BB0_3 Depth=1
	s_mov_b32 s11, 0
	.p2align	6
.LBB0_62:                               ;   Parent Loop BB0_3 Depth=1
                                        ; =>  This Inner Loop Header: Depth=2
	s_sleep 1
	s_clause 0x1
	global_load_dwordx2 v[25:26], v10, s[6:7] offset:40
	global_load_dwordx2 v[34:35], v10, s[6:7]
	v_mov_b32_e32 v27, v31
	v_mov_b32_e32 v28, v32
	s_waitcnt vmcnt(1)
	v_and_b32_e32 v9, v25, v27
	v_and_b32_e32 v25, v26, v28
	s_waitcnt vmcnt(0)
	v_mad_u64_u32 v[31:32], null, v9, 24, v[34:35]
	v_mov_b32_e32 v9, v32
	v_mad_u64_u32 v[25:26], null, v25, 24, v[9:10]
	v_mov_b32_e32 v32, v25
	global_load_dwordx2 v[25:26], v[31:32], off glc dlc
	s_waitcnt vmcnt(0)
	global_atomic_cmpswap_x2 v[31:32], v10, v[25:28], s[6:7] offset:24 glc
	s_waitcnt vmcnt(0)
	buffer_gl1_inv
	buffer_gl0_inv
	v_cmp_eq_u64_e32 vcc_lo, v[31:32], v[27:28]
	s_or_b32 s11, vcc_lo, s11
	s_andn2_b32 exec_lo, exec_lo, s11
	s_cbranch_execnz .LBB0_62
; %bb.63:                               ;   in Loop: Header=BB0_3 Depth=1
	s_or_b32 exec_lo, exec_lo, s11
.LBB0_64:                               ;   in Loop: Header=BB0_3 Depth=1
	s_or_b32 exec_lo, exec_lo, s10
.LBB0_65:                               ;   in Loop: Header=BB0_3 Depth=1
	s_or_b32 exec_lo, exec_lo, s5
	s_waitcnt lgkmcnt(0)
	s_clause 0x1
	global_load_dwordx2 v[34:35], v10, s[6:7] offset:40
	global_load_dwordx4 v[25:28], v10, s[6:7]
	v_readfirstlane_b32 s11, v32
	v_readfirstlane_b32 s10, v31
	s_mov_b32 s5, exec_lo
	s_waitcnt vmcnt(1)
	v_readfirstlane_b32 s12, v34
	v_readfirstlane_b32 s13, v35
	s_and_b64 s[12:13], s[12:13], s[10:11]
	s_mul_i32 s17, s13, 24
	s_mul_hi_u32 s18, s12, 24
	s_mul_i32 s19, s12, 24
	s_add_i32 s18, s18, s17
	s_waitcnt vmcnt(0)
	v_add_co_u32 v31, vcc_lo, v25, s19
	v_add_co_ci_u32_e64 v32, null, s18, v26, vcc_lo
	s_and_saveexec_b32 s17, s4
	s_cbranch_execz .LBB0_67
; %bb.66:                               ;   in Loop: Header=BB0_3 Depth=1
	v_mov_b32_e32 v9, s5
	global_store_dwordx4 v[31:32], v[9:12], off offset:8
.LBB0_67:                               ;   in Loop: Header=BB0_3 Depth=1
	s_or_b32 exec_lo, exec_lo, s17
	v_cmp_gt_u64_e32 vcc_lo, 57, v[4:5]
	s_lshl_b64 s[12:13], s[12:13], 12
	v_and_b32_e32 v0, 0xffffff1f, v0
	v_lshl_add_u32 v35, v29, 2, 28
	v_lshlrev_b32_e32 v34, 6, v33
	v_cndmask_b32_e32 v9, 0, v6, vcc_lo
	v_add_co_u32 v27, vcc_lo, v27, s12
	v_add_co_ci_u32_e64 v28, null, s13, v28, vcc_lo
	v_or_b32_e32 v0, v0, v9
	v_readfirstlane_b32 s12, v27
	v_readfirstlane_b32 s13, v28
	v_and_or_b32 v0, 0x1e0, v35, v0
	global_store_dwordx4 v34, v[13:16], s[12:13] offset:16
	global_store_dwordx4 v34, v[0:3], s[12:13]
	global_store_dwordx4 v34, v[17:20], s[12:13] offset:32
	global_store_dwordx4 v34, v[21:24], s[12:13] offset:48
	s_and_saveexec_b32 s5, s4
	s_cbranch_execz .LBB0_75
; %bb.68:                               ;   in Loop: Header=BB0_3 Depth=1
	s_clause 0x1
	global_load_dwordx2 v[17:18], v10, s[6:7] offset:32 glc dlc
	global_load_dwordx2 v[0:1], v10, s[6:7] offset:40
	v_mov_b32_e32 v15, s10
	v_mov_b32_e32 v16, s11
	s_waitcnt vmcnt(0)
	v_readfirstlane_b32 s12, v0
	v_readfirstlane_b32 s13, v1
	s_and_b64 s[12:13], s[12:13], s[10:11]
	s_mul_i32 s13, s13, 24
	s_mul_hi_u32 s17, s12, 24
	s_mul_i32 s12, s12, 24
	s_add_i32 s17, s17, s13
	v_add_co_u32 v13, vcc_lo, v25, s12
	v_add_co_ci_u32_e64 v14, null, s17, v26, vcc_lo
	s_mov_b32 s12, exec_lo
	global_store_dwordx2 v[13:14], v[17:18], off
	s_waitcnt_vscnt null, 0x0
	global_atomic_cmpswap_x2 v[2:3], v10, v[15:18], s[6:7] offset:32 glc
	s_waitcnt vmcnt(0)
	v_cmpx_ne_u64_e64 v[2:3], v[17:18]
	s_cbranch_execz .LBB0_71
; %bb.69:                               ;   in Loop: Header=BB0_3 Depth=1
	s_mov_b32 s13, 0
.LBB0_70:                               ;   Parent Loop BB0_3 Depth=1
                                        ; =>  This Inner Loop Header: Depth=2
	v_mov_b32_e32 v0, s10
	v_mov_b32_e32 v1, s11
	s_sleep 1
	global_store_dwordx2 v[13:14], v[2:3], off
	s_waitcnt_vscnt null, 0x0
	global_atomic_cmpswap_x2 v[0:1], v10, v[0:3], s[6:7] offset:32 glc
	s_waitcnt vmcnt(0)
	v_cmp_eq_u64_e32 vcc_lo, v[0:1], v[2:3]
	v_mov_b32_e32 v3, v1
	v_mov_b32_e32 v2, v0
	s_or_b32 s13, vcc_lo, s13
	s_andn2_b32 exec_lo, exec_lo, s13
	s_cbranch_execnz .LBB0_70
.LBB0_71:                               ;   in Loop: Header=BB0_3 Depth=1
	s_or_b32 exec_lo, exec_lo, s12
	global_load_dwordx2 v[0:1], v10, s[6:7] offset:16
	s_mov_b32 s13, exec_lo
	s_mov_b32 s12, exec_lo
	v_mbcnt_lo_u32_b32 v2, s13, 0
	v_cmpx_eq_u32_e32 0, v2
	s_cbranch_execz .LBB0_73
; %bb.72:                               ;   in Loop: Header=BB0_3 Depth=1
	s_bcnt1_i32_b32 s13, s13
	v_mov_b32_e32 v9, s13
	s_waitcnt vmcnt(0)
	global_atomic_add_x2 v[0:1], v[9:10], off offset:8
.LBB0_73:                               ;   in Loop: Header=BB0_3 Depth=1
	s_or_b32 exec_lo, exec_lo, s12
	s_waitcnt vmcnt(0)
	global_load_dwordx2 v[2:3], v[0:1], off offset:16
	s_waitcnt vmcnt(0)
	v_cmp_eq_u64_e32 vcc_lo, 0, v[2:3]
	s_cbranch_vccnz .LBB0_75
; %bb.74:                               ;   in Loop: Header=BB0_3 Depth=1
	global_load_dword v9, v[0:1], off offset:24
	s_waitcnt vmcnt(0)
	v_readfirstlane_b32 s12, v9
	s_waitcnt_vscnt null, 0x0
	global_store_dwordx2 v[2:3], v[9:10], off
	s_and_b32 m0, s12, 0x7fffff
	s_sendmsg sendmsg(MSG_INTERRUPT)
.LBB0_75:                               ;   in Loop: Header=BB0_3 Depth=1
	s_or_b32 exec_lo, exec_lo, s5
	v_add_co_u32 v0, vcc_lo, v27, v34
	v_add_co_ci_u32_e64 v1, null, 0, v28, vcc_lo
	s_branch .LBB0_79
	.p2align	6
.LBB0_76:                               ;   in Loop: Header=BB0_79 Depth=2
	s_or_b32 exec_lo, exec_lo, s5
	v_readfirstlane_b32 s5, v2
	s_cmp_eq_u32 s5, 0
	s_cbranch_scc1 .LBB0_78
; %bb.77:                               ;   in Loop: Header=BB0_79 Depth=2
	s_sleep 1
	s_cbranch_execnz .LBB0_79
	s_branch .LBB0_81
	.p2align	6
.LBB0_78:                               ;   in Loop: Header=BB0_3 Depth=1
	s_branch .LBB0_81
.LBB0_79:                               ;   Parent Loop BB0_3 Depth=1
                                        ; =>  This Inner Loop Header: Depth=2
	v_mov_b32_e32 v2, 1
	s_and_saveexec_b32 s5, s4
	s_cbranch_execz .LBB0_76
; %bb.80:                               ;   in Loop: Header=BB0_79 Depth=2
	global_load_dword v2, v[31:32], off offset:20 glc dlc
	s_waitcnt vmcnt(0)
	buffer_gl1_inv
	buffer_gl0_inv
	v_and_b32_e32 v2, 1, v2
	s_branch .LBB0_76
.LBB0_81:                               ;   in Loop: Header=BB0_3 Depth=1
	global_load_dwordx4 v[0:3], v[0:1], off
	s_and_saveexec_b32 s12, s4
	s_cbranch_execz .LBB0_2
; %bb.82:                               ;   in Loop: Header=BB0_3 Depth=1
	s_clause 0x2
	global_load_dwordx2 v[2:3], v10, s[6:7] offset:40
	global_load_dwordx2 v[17:18], v10, s[6:7] offset:24 glc dlc
	global_load_dwordx2 v[13:14], v10, s[6:7]
	s_waitcnt vmcnt(2)
	v_readfirstlane_b32 s18, v2
	v_readfirstlane_b32 s19, v3
	s_add_u32 s13, s18, 1
	s_addc_u32 s17, s19, 0
	s_add_u32 s4, s13, s10
	s_addc_u32 s5, s17, s11
	s_cmp_eq_u64 s[4:5], 0
	s_cselect_b32 s5, s17, s5
	s_cselect_b32 s4, s13, s4
	v_mov_b32_e32 v16, s5
	s_and_b64 s[10:11], s[4:5], s[18:19]
	v_mov_b32_e32 v15, s4
	s_mul_i32 s11, s11, 24
	s_mul_hi_u32 s13, s10, 24
	s_mul_i32 s10, s10, 24
	s_add_i32 s13, s13, s11
	s_waitcnt vmcnt(0)
	v_add_co_u32 v2, vcc_lo, v13, s10
	v_add_co_ci_u32_e64 v3, null, s13, v14, vcc_lo
	global_store_dwordx2 v[2:3], v[17:18], off
	s_waitcnt_vscnt null, 0x0
	global_atomic_cmpswap_x2 v[15:16], v10, v[15:18], s[6:7] offset:24 glc
	s_waitcnt vmcnt(0)
	v_cmp_ne_u64_e32 vcc_lo, v[15:16], v[17:18]
	s_and_b32 exec_lo, exec_lo, vcc_lo
	s_cbranch_execz .LBB0_2
; %bb.83:                               ;   in Loop: Header=BB0_3 Depth=1
	s_mov_b32 s10, 0
.LBB0_84:                               ;   Parent Loop BB0_3 Depth=1
                                        ; =>  This Inner Loop Header: Depth=2
	v_mov_b32_e32 v13, s4
	v_mov_b32_e32 v14, s5
	s_sleep 1
	global_store_dwordx2 v[2:3], v[15:16], off
	s_waitcnt_vscnt null, 0x0
	global_atomic_cmpswap_x2 v[13:14], v10, v[13:16], s[6:7] offset:24 glc
	s_waitcnt vmcnt(0)
	v_cmp_eq_u64_e32 vcc_lo, v[13:14], v[15:16]
	v_mov_b32_e32 v16, v14
	v_mov_b32_e32 v15, v13
	s_or_b32 s10, vcc_lo, s10
	s_andn2_b32 exec_lo, exec_lo, s10
	s_cbranch_execnz .LBB0_84
	s_branch .LBB0_2
.LBB0_85:
	s_or_b32 exec_lo, exec_lo, s16
                                        ; implicit-def: $vgpr0
                                        ; implicit-def: $vgpr33
                                        ; implicit-def: $vgpr1
.LBB0_86:
	s_andn2_saveexec_b32 s12, s14
	s_cbranch_execz .LBB0_109
; %bb.87:
	s_load_dwordx2 s[6:7], s[8:9], 0x50
	v_readfirstlane_b32 s4, v33
	v_mov_b32_e32 v8, 0
	v_mov_b32_e32 v9, 0
	v_cmp_eq_u32_e64 s4, s4, v33
	s_and_saveexec_b32 s5, s4
	s_cbranch_execz .LBB0_93
; %bb.88:
	s_waitcnt vmcnt(0)
	v_mov_b32_e32 v2, 0
	s_mov_b32 s8, exec_lo
	s_waitcnt lgkmcnt(0)
	global_load_dwordx2 v[5:6], v2, s[6:7] offset:24 glc dlc
	s_waitcnt vmcnt(0)
	buffer_gl1_inv
	buffer_gl0_inv
	s_clause 0x1
	global_load_dwordx2 v[3:4], v2, s[6:7] offset:40
	global_load_dwordx2 v[7:8], v2, s[6:7]
	s_waitcnt vmcnt(1)
	v_and_b32_e32 v4, v4, v6
	v_and_b32_e32 v3, v3, v5
	v_mul_lo_u32 v4, v4, 24
	v_mul_hi_u32 v9, v3, 24
	v_mul_lo_u32 v3, v3, 24
	v_add_nc_u32_e32 v4, v9, v4
	s_waitcnt vmcnt(0)
	v_add_co_u32 v3, vcc_lo, v7, v3
	v_add_co_ci_u32_e64 v4, null, v8, v4, vcc_lo
	global_load_dwordx2 v[3:4], v[3:4], off glc dlc
	s_waitcnt vmcnt(0)
	global_atomic_cmpswap_x2 v[8:9], v2, v[3:6], s[6:7] offset:24 glc
	s_waitcnt vmcnt(0)
	buffer_gl1_inv
	buffer_gl0_inv
	v_cmpx_ne_u64_e64 v[8:9], v[5:6]
	s_cbranch_execz .LBB0_92
; %bb.89:
	s_mov_b32 s9, 0
	.p2align	6
.LBB0_90:                               ; =>This Inner Loop Header: Depth=1
	s_sleep 1
	s_clause 0x1
	global_load_dwordx2 v[3:4], v2, s[6:7] offset:40
	global_load_dwordx2 v[10:11], v2, s[6:7]
	v_mov_b32_e32 v5, v8
	v_mov_b32_e32 v6, v9
	s_waitcnt vmcnt(1)
	v_and_b32_e32 v3, v3, v5
	v_and_b32_e32 v4, v4, v6
	s_waitcnt vmcnt(0)
	v_mad_u64_u32 v[7:8], null, v3, 24, v[10:11]
	v_mov_b32_e32 v3, v8
	v_mad_u64_u32 v[3:4], null, v4, 24, v[3:4]
	v_mov_b32_e32 v8, v3
	global_load_dwordx2 v[3:4], v[7:8], off glc dlc
	s_waitcnt vmcnt(0)
	global_atomic_cmpswap_x2 v[8:9], v2, v[3:6], s[6:7] offset:24 glc
	s_waitcnt vmcnt(0)
	buffer_gl1_inv
	buffer_gl0_inv
	v_cmp_eq_u64_e32 vcc_lo, v[8:9], v[5:6]
	s_or_b32 s9, vcc_lo, s9
	s_andn2_b32 exec_lo, exec_lo, s9
	s_cbranch_execnz .LBB0_90
; %bb.91:
	s_or_b32 exec_lo, exec_lo, s9
.LBB0_92:
	s_or_b32 exec_lo, exec_lo, s8
.LBB0_93:
	s_or_b32 exec_lo, exec_lo, s5
	s_waitcnt vmcnt(0)
	v_mov_b32_e32 v2, 0
	v_readfirstlane_b32 s9, v9
	v_readfirstlane_b32 s8, v8
	s_mov_b32 s5, exec_lo
	s_waitcnt lgkmcnt(0)
	s_clause 0x1
	global_load_dwordx2 v[10:11], v2, s[6:7] offset:40
	global_load_dwordx4 v[4:7], v2, s[6:7]
	s_waitcnt vmcnt(1)
	v_readfirstlane_b32 s10, v10
	v_readfirstlane_b32 s11, v11
	s_and_b64 s[10:11], s[10:11], s[8:9]
	s_mul_i32 s13, s11, 24
	s_mul_hi_u32 s14, s10, 24
	s_mul_i32 s15, s10, 24
	s_add_i32 s14, s14, s13
	s_waitcnt vmcnt(0)
	v_add_co_u32 v8, vcc_lo, v4, s15
	v_add_co_ci_u32_e64 v9, null, s14, v5, vcc_lo
	s_and_saveexec_b32 s13, s4
	s_cbranch_execz .LBB0_95
; %bb.94:
	v_mov_b32_e32 v10, s5
	v_mov_b32_e32 v11, v2
	;; [unrolled: 1-line block ×4, first 2 shown]
	global_store_dwordx4 v[8:9], v[10:13], off offset:8
.LBB0_95:
	s_or_b32 exec_lo, exec_lo, s13
	s_lshl_b64 s[10:11], s[10:11], 12
	s_mov_b32 s16, 0
	v_add_co_u32 v6, vcc_lo, v6, s10
	v_add_co_ci_u32_e64 v7, null, s11, v7, vcc_lo
	s_mov_b32 s17, s16
	s_mov_b32 s18, s16
	;; [unrolled: 1-line block ×3, first 2 shown]
	v_and_or_b32 v0, 0xffffff1f, v0, 32
	v_lshlrev_b32_e32 v14, 6, v33
	v_mov_b32_e32 v3, v2
	v_readfirstlane_b32 s10, v6
	v_readfirstlane_b32 s11, v7
	v_mov_b32_e32 v10, s16
	v_mov_b32_e32 v11, s17
	;; [unrolled: 1-line block ×4, first 2 shown]
	global_store_dwordx4 v14, v[0:3], s[10:11]
	global_store_dwordx4 v14, v[10:13], s[10:11] offset:16
	global_store_dwordx4 v14, v[10:13], s[10:11] offset:32
	;; [unrolled: 1-line block ×3, first 2 shown]
	s_and_saveexec_b32 s5, s4
	s_cbranch_execz .LBB0_103
; %bb.96:
	v_mov_b32_e32 v6, 0
	v_mov_b32_e32 v10, s8
	v_mov_b32_e32 v11, s9
	s_mov_b32 s10, exec_lo
	s_clause 0x1
	global_load_dwordx2 v[12:13], v6, s[6:7] offset:32 glc dlc
	global_load_dwordx2 v[0:1], v6, s[6:7] offset:40
	s_waitcnt vmcnt(0)
	v_and_b32_e32 v1, s9, v1
	v_and_b32_e32 v0, s8, v0
	v_mul_lo_u32 v1, v1, 24
	v_mul_hi_u32 v2, v0, 24
	v_mul_lo_u32 v0, v0, 24
	v_add_nc_u32_e32 v1, v2, v1
	v_add_co_u32 v4, vcc_lo, v4, v0
	v_add_co_ci_u32_e64 v5, null, v5, v1, vcc_lo
	global_store_dwordx2 v[4:5], v[12:13], off
	s_waitcnt_vscnt null, 0x0
	global_atomic_cmpswap_x2 v[2:3], v6, v[10:13], s[6:7] offset:32 glc
	s_waitcnt vmcnt(0)
	v_cmpx_ne_u64_e64 v[2:3], v[12:13]
	s_cbranch_execz .LBB0_99
; %bb.97:
	s_mov_b32 s11, 0
.LBB0_98:                               ; =>This Inner Loop Header: Depth=1
	v_mov_b32_e32 v0, s8
	v_mov_b32_e32 v1, s9
	s_sleep 1
	global_store_dwordx2 v[4:5], v[2:3], off
	s_waitcnt_vscnt null, 0x0
	global_atomic_cmpswap_x2 v[0:1], v6, v[0:3], s[6:7] offset:32 glc
	s_waitcnt vmcnt(0)
	v_cmp_eq_u64_e32 vcc_lo, v[0:1], v[2:3]
	v_mov_b32_e32 v3, v1
	v_mov_b32_e32 v2, v0
	s_or_b32 s11, vcc_lo, s11
	s_andn2_b32 exec_lo, exec_lo, s11
	s_cbranch_execnz .LBB0_98
.LBB0_99:
	s_or_b32 exec_lo, exec_lo, s10
	v_mov_b32_e32 v3, 0
	s_mov_b32 s11, exec_lo
	s_mov_b32 s10, exec_lo
	v_mbcnt_lo_u32_b32 v2, s11, 0
	global_load_dwordx2 v[0:1], v3, s[6:7] offset:16
	v_cmpx_eq_u32_e32 0, v2
	s_cbranch_execz .LBB0_101
; %bb.100:
	s_bcnt1_i32_b32 s11, s11
	v_mov_b32_e32 v2, s11
	s_waitcnt vmcnt(0)
	global_atomic_add_x2 v[0:1], v[2:3], off offset:8
.LBB0_101:
	s_or_b32 exec_lo, exec_lo, s10
	s_waitcnt vmcnt(0)
	global_load_dwordx2 v[2:3], v[0:1], off offset:16
	s_waitcnt vmcnt(0)
	v_cmp_eq_u64_e32 vcc_lo, 0, v[2:3]
	s_cbranch_vccnz .LBB0_103
; %bb.102:
	global_load_dword v0, v[0:1], off offset:24
	v_mov_b32_e32 v1, 0
	s_waitcnt vmcnt(0)
	v_readfirstlane_b32 s10, v0
	s_waitcnt_vscnt null, 0x0
	global_store_dwordx2 v[2:3], v[0:1], off
	s_and_b32 m0, s10, 0x7fffff
	s_sendmsg sendmsg(MSG_INTERRUPT)
.LBB0_103:
	s_or_b32 exec_lo, exec_lo, s5
	s_branch .LBB0_107
	.p2align	6
.LBB0_104:                              ;   in Loop: Header=BB0_107 Depth=1
	s_or_b32 exec_lo, exec_lo, s5
	v_readfirstlane_b32 s5, v0
	s_cmp_eq_u32 s5, 0
	s_cbranch_scc1 .LBB0_106
; %bb.105:                              ;   in Loop: Header=BB0_107 Depth=1
	s_sleep 1
	s_cbranch_execnz .LBB0_107
	s_branch .LBB0_110
	.p2align	6
.LBB0_106:
	s_branch .LBB0_110
.LBB0_107:                              ; =>This Inner Loop Header: Depth=1
	v_mov_b32_e32 v0, 1
	s_and_saveexec_b32 s5, s4
	s_cbranch_execz .LBB0_104
; %bb.108:                              ;   in Loop: Header=BB0_107 Depth=1
	global_load_dword v0, v[8:9], off offset:20 glc dlc
	s_waitcnt vmcnt(0)
	buffer_gl1_inv
	buffer_gl0_inv
	v_and_b32_e32 v0, 1, v0
	s_branch .LBB0_104
.LBB0_109:
	s_or_b32 exec_lo, exec_lo, s12
	s_waitcnt vmcnt(0) lgkmcnt(0)
	s_setpc_b64 s[30:31]
.LBB0_110:
	s_and_saveexec_b32 s10, s4
	s_cbranch_execz .LBB0_114
; %bb.111:
	v_mov_b32_e32 v6, 0
	s_clause 0x2
	global_load_dwordx2 v[0:1], v6, s[6:7] offset:40
	global_load_dwordx2 v[9:10], v6, s[6:7] offset:24 glc dlc
	global_load_dwordx2 v[2:3], v6, s[6:7]
	s_waitcnt vmcnt(2)
	v_readfirstlane_b32 s14, v0
	v_readfirstlane_b32 s15, v1
	s_add_u32 s11, s14, 1
	s_addc_u32 s13, s15, 0
	s_add_u32 s4, s11, s8
	s_addc_u32 s5, s13, s9
	s_cmp_eq_u64 s[4:5], 0
	s_cselect_b32 s5, s13, s5
	s_cselect_b32 s4, s11, s4
	v_mov_b32_e32 v8, s5
	s_and_b64 s[8:9], s[4:5], s[14:15]
	v_mov_b32_e32 v7, s4
	s_mul_i32 s9, s9, 24
	s_mul_hi_u32 s11, s8, 24
	s_mul_i32 s8, s8, 24
	s_add_i32 s11, s11, s9
	s_waitcnt vmcnt(0)
	v_add_co_u32 v4, vcc_lo, v2, s8
	v_add_co_ci_u32_e64 v5, null, s11, v3, vcc_lo
	global_store_dwordx2 v[4:5], v[9:10], off
	s_waitcnt_vscnt null, 0x0
	global_atomic_cmpswap_x2 v[2:3], v6, v[7:10], s[6:7] offset:24 glc
	s_waitcnt vmcnt(0)
	v_cmp_ne_u64_e32 vcc_lo, v[2:3], v[9:10]
	s_and_b32 exec_lo, exec_lo, vcc_lo
	s_cbranch_execz .LBB0_114
; %bb.112:
	s_mov_b32 s8, 0
.LBB0_113:                              ; =>This Inner Loop Header: Depth=1
	v_mov_b32_e32 v0, s4
	v_mov_b32_e32 v1, s5
	s_sleep 1
	global_store_dwordx2 v[4:5], v[2:3], off
	s_waitcnt_vscnt null, 0x0
	global_atomic_cmpswap_x2 v[0:1], v6, v[0:3], s[6:7] offset:24 glc
	s_waitcnt vmcnt(0)
	v_cmp_eq_u64_e32 vcc_lo, v[0:1], v[2:3]
	v_mov_b32_e32 v3, v1
	v_mov_b32_e32 v2, v0
	s_or_b32 s8, vcc_lo, s8
	s_andn2_b32 exec_lo, exec_lo, s8
	s_cbranch_execnz .LBB0_113
.LBB0_114:
	s_or_b32 exec_lo, exec_lo, s10
	s_or_b32 exec_lo, exec_lo, s12
	s_waitcnt lgkmcnt(0)
	s_setpc_b64 s[30:31]
.Lfunc_end0:
	.size	__ockl_fprintf_append_string_n, .Lfunc_end0-__ockl_fprintf_append_string_n
                                        ; -- End function
	.set .L__ockl_fprintf_append_string_n.num_vgpr, 36
	.set .L__ockl_fprintf_append_string_n.num_agpr, 0
	.set .L__ockl_fprintf_append_string_n.numbered_sgpr, 32
	.set .L__ockl_fprintf_append_string_n.num_named_barrier, 0
	.set .L__ockl_fprintf_append_string_n.private_seg_size, 0
	.set .L__ockl_fprintf_append_string_n.uses_vcc, 1
	.set .L__ockl_fprintf_append_string_n.uses_flat_scratch, 0
	.set .L__ockl_fprintf_append_string_n.has_dyn_sized_stack, 0
	.set .L__ockl_fprintf_append_string_n.has_recursion, 0
	.set .L__ockl_fprintf_append_string_n.has_indirect_call, 0
	.section	.AMDGPU.csdata,"",@progbits
; Function info:
; codeLenInByte = 4532
; TotalNumSgprs: 34
; NumVgprs: 36
; ScratchSize: 0
; MemoryBound: 0
	.text
	.p2align	2                               ; -- Begin function __assert_fail
	.type	__assert_fail,@function
__assert_fail:                          ; @__assert_fail
; %bb.0:
	s_waitcnt vmcnt(0) expcnt(0) lgkmcnt(0)
	s_mov_b32 s24, s33
	s_mov_b32 s33, s32
	s_or_saveexec_b32 s4, -1
	buffer_store_dword v40, off, s[0:3], s33 offset:48 ; 4-byte Folded Spill
	s_mov_b32 exec_lo, s4
	v_writelane_b32 v40, s30, 0
	s_addk_i32 s32, 0x800
	v_writelane_b32 v40, s31, 1
	v_mov_b32_e32 v6, v3
	v_mov_b32_e32 v3, 0
	s_getpc_b64 s[4:5]
	s_add_u32 s4, s4, __const.__assert_fail.fmt@rel32@lo+35
	s_addc_u32 s5, s5, __const.__assert_fail.fmt@rel32@hi+43
	v_mbcnt_lo_u32_b32 v36, -1, 0
	v_mov_b32_e32 v9, v1
	v_mov_b32_e32 v8, v0
	global_load_dwordx4 v[10:13], v3, s[4:5]
	s_getpc_b64 s[4:5]
	s_add_u32 s4, s4, __const.__assert_fail.fmt@rel32@lo+4
	s_addc_u32 s5, s5, __const.__assert_fail.fmt@rel32@hi+12
	s_getpc_b64 s[6:7]
	s_add_u32 s6, s6, __const.__assert_fail.fmt@rel32@lo+20
	s_addc_u32 s7, s7, __const.__assert_fail.fmt@rel32@hi+28
	s_clause 0x1
	s_load_dwordx4 s[12:15], s[4:5], 0x0
	s_load_dwordx4 s[16:19], s[6:7], 0x0
	s_load_dwordx2 s[6:7], s[8:9], 0x50
	v_readfirstlane_b32 s4, v36
	v_mov_b32_e32 v0, 0
	v_mov_b32_e32 v7, v4
	;; [unrolled: 1-line block ×3, first 2 shown]
	v_cmp_eq_u32_e64 s4, s4, v36
	s_waitcnt lgkmcnt(0)
	v_mov_b32_e32 v4, s15
	v_mov_b32_e32 v5, s14
	;; [unrolled: 1-line block ×8, first 2 shown]
	buffer_store_dword v4, off, s[0:3], s33 offset:12
	buffer_store_dword v5, off, s[0:3], s33 offset:8
	;; [unrolled: 1-line block ×3, first 2 shown]
	buffer_store_dword v15, off, s[0:3], s33
	buffer_store_dword v16, off, s[0:3], s33 offset:28
	buffer_store_dword v17, off, s[0:3], s33 offset:24
	;; [unrolled: 1-line block ×4, first 2 shown]
	s_waitcnt vmcnt(0)
	buffer_store_dword v13, off, s[0:3], s33 offset:43
	buffer_store_dword v12, off, s[0:3], s33 offset:39
	;; [unrolled: 1-line block ×4, first 2 shown]
	s_and_saveexec_b32 s5, s4
	s_cbranch_execz .LBB1_6
; %bb.1:
	global_load_dwordx2 v[12:13], v3, s[6:7] offset:24 glc dlc
	s_waitcnt vmcnt(0)
	buffer_gl1_inv
	buffer_gl0_inv
	s_clause 0x1
	global_load_dwordx2 v[0:1], v3, s[6:7] offset:40
	global_load_dwordx2 v[4:5], v3, s[6:7]
	s_mov_b32 s10, exec_lo
	s_waitcnt vmcnt(1)
	v_and_b32_e32 v1, v1, v13
	v_and_b32_e32 v0, v0, v12
	v_mul_lo_u32 v1, v1, 24
	v_mul_hi_u32 v10, v0, 24
	v_mul_lo_u32 v0, v0, 24
	v_add_nc_u32_e32 v1, v10, v1
	s_waitcnt vmcnt(0)
	v_add_co_u32 v0, vcc_lo, v4, v0
	v_add_co_ci_u32_e64 v1, null, v5, v1, vcc_lo
	global_load_dwordx2 v[10:11], v[0:1], off glc dlc
	s_waitcnt vmcnt(0)
	global_atomic_cmpswap_x2 v[0:1], v3, v[10:13], s[6:7] offset:24 glc
	s_waitcnt vmcnt(0)
	buffer_gl1_inv
	buffer_gl0_inv
	v_cmpx_ne_u64_e64 v[0:1], v[12:13]
	s_cbranch_execz .LBB1_5
; %bb.2:
	v_mov_b32_e32 v4, 0
	s_mov_b32 s11, 0
	.p2align	6
.LBB1_3:                                ; =>This Inner Loop Header: Depth=1
	s_sleep 1
	s_clause 0x1
	global_load_dwordx2 v[10:11], v4, s[6:7] offset:40
	global_load_dwordx2 v[14:15], v4, s[6:7]
	v_mov_b32_e32 v13, v1
	v_mov_b32_e32 v12, v0
	s_waitcnt vmcnt(1)
	v_and_b32_e32 v0, v10, v12
	v_and_b32_e32 v5, v11, v13
	s_waitcnt vmcnt(0)
	v_mad_u64_u32 v[0:1], null, v0, 24, v[14:15]
	v_mad_u64_u32 v[10:11], null, v5, 24, v[1:2]
	v_mov_b32_e32 v1, v10
	global_load_dwordx2 v[10:11], v[0:1], off glc dlc
	s_waitcnt vmcnt(0)
	global_atomic_cmpswap_x2 v[0:1], v4, v[10:13], s[6:7] offset:24 glc
	s_waitcnt vmcnt(0)
	buffer_gl1_inv
	buffer_gl0_inv
	v_cmp_eq_u64_e32 vcc_lo, v[0:1], v[12:13]
	s_or_b32 s11, vcc_lo, s11
	s_andn2_b32 exec_lo, exec_lo, s11
	s_cbranch_execnz .LBB1_3
; %bb.4:
	s_or_b32 exec_lo, exec_lo, s11
.LBB1_5:
	s_or_b32 exec_lo, exec_lo, s10
.LBB1_6:
	s_or_b32 exec_lo, exec_lo, s5
	s_clause 0x1
	global_load_dwordx2 v[4:5], v3, s[6:7] offset:40
	global_load_dwordx4 v[10:13], v3, s[6:7]
	v_readfirstlane_b32 s11, v1
	v_readfirstlane_b32 s10, v0
	s_mov_b32 s5, exec_lo
	s_waitcnt vmcnt(1)
	v_readfirstlane_b32 s12, v4
	v_readfirstlane_b32 s13, v5
	s_and_b64 s[12:13], s[12:13], s[10:11]
	s_mul_i32 s14, s13, 24
	s_mul_hi_u32 s15, s12, 24
	s_mul_i32 s16, s12, 24
	s_add_i32 s15, s15, s14
	s_waitcnt vmcnt(0)
	v_add_co_u32 v0, vcc_lo, v10, s16
	v_add_co_ci_u32_e64 v1, null, s15, v11, vcc_lo
	s_and_saveexec_b32 s14, s4
	s_cbranch_execz .LBB1_8
; %bb.7:
	v_mov_b32_e32 v14, s5
	v_mov_b32_e32 v15, 0
	;; [unrolled: 1-line block ×4, first 2 shown]
	global_store_dwordx4 v[0:1], v[14:17], off offset:8
.LBB1_8:
	s_or_b32 exec_lo, exec_lo, s14
	s_lshl_b64 s[12:13], s[12:13], 12
	v_lshlrev_b32_e32 v37, 6, v36
	v_add_co_u32 v3, vcc_lo, v12, s12
	v_add_co_ci_u32_e64 v4, null, s13, v13, vcc_lo
	v_mov_b32_e32 v13, 0
	s_mov_b32 s12, 0
	v_readfirstlane_b32 s16, v3
	s_mov_b32 s15, s12
	v_add_co_u32 v3, vcc_lo, v3, v37
	s_mov_b32 s13, s12
	s_mov_b32 s14, s12
	v_mov_b32_e32 v12, 33
	v_mov_b32_e32 v14, 1
	;; [unrolled: 1-line block ×3, first 2 shown]
	v_readfirstlane_b32 s17, v4
	v_mov_b32_e32 v19, s15
	v_add_co_ci_u32_e64 v4, null, 0, v4, vcc_lo
	v_mov_b32_e32 v18, s14
	v_mov_b32_e32 v17, s13
	;; [unrolled: 1-line block ×3, first 2 shown]
	global_store_dwordx4 v37, v[12:15], s[16:17]
	global_store_dwordx4 v37, v[16:19], s[16:17] offset:16
	global_store_dwordx4 v37, v[16:19], s[16:17] offset:32
	;; [unrolled: 1-line block ×3, first 2 shown]
	s_and_saveexec_b32 s5, s4
	s_cbranch_execz .LBB1_16
; %bb.9:
	s_clause 0x1
	global_load_dwordx2 v[18:19], v13, s[6:7] offset:32 glc dlc
	global_load_dwordx2 v[14:15], v13, s[6:7] offset:40
	v_mov_b32_e32 v16, s10
	v_mov_b32_e32 v17, s11
	s_mov_b32 s12, exec_lo
	s_waitcnt vmcnt(0)
	v_and_b32_e32 v5, s11, v15
	v_and_b32_e32 v12, s10, v14
	v_mul_lo_u32 v5, v5, 24
	v_mul_hi_u32 v14, v12, 24
	v_mul_lo_u32 v12, v12, 24
	v_add_nc_u32_e32 v5, v14, v5
	v_add_co_u32 v14, vcc_lo, v10, v12
	v_add_co_ci_u32_e64 v15, null, v11, v5, vcc_lo
	global_store_dwordx2 v[14:15], v[18:19], off
	s_waitcnt_vscnt null, 0x0
	global_atomic_cmpswap_x2 v[12:13], v13, v[16:19], s[6:7] offset:32 glc
	s_waitcnt vmcnt(0)
	v_cmpx_ne_u64_e64 v[12:13], v[18:19]
	s_cbranch_execz .LBB1_12
; %bb.10:
	v_mov_b32_e32 v5, 0
	s_mov_b32 s13, 0
.LBB1_11:                               ; =>This Inner Loop Header: Depth=1
	v_mov_b32_e32 v10, s10
	v_mov_b32_e32 v11, s11
	s_sleep 1
	global_store_dwordx2 v[14:15], v[12:13], off
	s_waitcnt_vscnt null, 0x0
	global_atomic_cmpswap_x2 v[10:11], v5, v[10:13], s[6:7] offset:32 glc
	s_waitcnt vmcnt(0)
	v_cmp_eq_u64_e32 vcc_lo, v[10:11], v[12:13]
	v_mov_b32_e32 v13, v11
	v_mov_b32_e32 v12, v10
	s_or_b32 s13, vcc_lo, s13
	s_andn2_b32 exec_lo, exec_lo, s13
	s_cbranch_execnz .LBB1_11
.LBB1_12:
	s_or_b32 exec_lo, exec_lo, s12
	v_mov_b32_e32 v13, 0
	s_mov_b32 s13, exec_lo
	s_mov_b32 s12, exec_lo
	v_mbcnt_lo_u32_b32 v5, s13, 0
	global_load_dwordx2 v[10:11], v13, s[6:7] offset:16
	v_cmpx_eq_u32_e32 0, v5
	s_cbranch_execz .LBB1_14
; %bb.13:
	s_bcnt1_i32_b32 s13, s13
	v_mov_b32_e32 v12, s13
	s_waitcnt vmcnt(0)
	global_atomic_add_x2 v[10:11], v[12:13], off offset:8
.LBB1_14:
	s_or_b32 exec_lo, exec_lo, s12
	s_waitcnt vmcnt(0)
	global_load_dwordx2 v[12:13], v[10:11], off offset:16
	s_waitcnt vmcnt(0)
	v_cmp_eq_u64_e32 vcc_lo, 0, v[12:13]
	s_cbranch_vccnz .LBB1_16
; %bb.15:
	global_load_dword v10, v[10:11], off offset:24
	v_mov_b32_e32 v11, 0
	s_waitcnt vmcnt(0)
	v_readfirstlane_b32 s12, v10
	s_waitcnt_vscnt null, 0x0
	global_store_dwordx2 v[12:13], v[10:11], off
	s_and_b32 m0, s12, 0x7fffff
	s_sendmsg sendmsg(MSG_INTERRUPT)
.LBB1_16:
	s_or_b32 exec_lo, exec_lo, s5
	s_branch .LBB1_20
	.p2align	6
.LBB1_17:                               ;   in Loop: Header=BB1_20 Depth=1
	s_or_b32 exec_lo, exec_lo, s5
	v_readfirstlane_b32 s5, v5
	s_cmp_eq_u32 s5, 0
	s_cbranch_scc1 .LBB1_19
; %bb.18:                               ;   in Loop: Header=BB1_20 Depth=1
	s_sleep 1
	s_cbranch_execnz .LBB1_20
	s_branch .LBB1_22
	.p2align	6
.LBB1_19:
	s_branch .LBB1_22
.LBB1_20:                               ; =>This Inner Loop Header: Depth=1
	v_mov_b32_e32 v5, 1
	s_and_saveexec_b32 s5, s4
	s_cbranch_execz .LBB1_17
; %bb.21:                               ;   in Loop: Header=BB1_20 Depth=1
	global_load_dword v5, v[0:1], off offset:20 glc dlc
	s_waitcnt vmcnt(0)
	buffer_gl1_inv
	buffer_gl0_inv
	v_and_b32_e32 v5, 1, v5
	s_branch .LBB1_17
.LBB1_22:
	global_load_dwordx2 v[14:15], v[3:4], off
	s_and_saveexec_b32 s12, s4
	s_cbranch_execz .LBB1_26
; %bb.23:
	v_mov_b32_e32 v3, 0
	s_clause 0x2
	global_load_dwordx2 v[0:1], v3, s[6:7] offset:40
	global_load_dwordx2 v[18:19], v3, s[6:7] offset:24 glc dlc
	global_load_dwordx2 v[4:5], v3, s[6:7]
	s_waitcnt vmcnt(2)
	v_readfirstlane_b32 s14, v0
	v_readfirstlane_b32 s15, v1
	s_add_u32 s13, s14, 1
	s_addc_u32 s16, s15, 0
	s_add_u32 s4, s13, s10
	s_addc_u32 s5, s16, s11
	s_cmp_eq_u64 s[4:5], 0
	s_cselect_b32 s5, s16, s5
	s_cselect_b32 s4, s13, s4
	v_mov_b32_e32 v17, s5
	s_and_b64 s[10:11], s[4:5], s[14:15]
	v_mov_b32_e32 v16, s4
	s_mul_i32 s11, s11, 24
	s_mul_hi_u32 s13, s10, 24
	s_mul_i32 s10, s10, 24
	s_add_i32 s13, s13, s11
	s_waitcnt vmcnt(0)
	v_add_co_u32 v0, vcc_lo, v4, s10
	v_add_co_ci_u32_e64 v1, null, s13, v5, vcc_lo
	global_store_dwordx2 v[0:1], v[18:19], off
	s_waitcnt_vscnt null, 0x0
	global_atomic_cmpswap_x2 v[12:13], v3, v[16:19], s[6:7] offset:24 glc
	s_waitcnt vmcnt(0)
	v_cmp_ne_u64_e32 vcc_lo, v[12:13], v[18:19]
	s_and_b32 exec_lo, exec_lo, vcc_lo
	s_cbranch_execz .LBB1_26
; %bb.24:
	s_mov_b32 s10, 0
.LBB1_25:                               ; =>This Inner Loop Header: Depth=1
	v_mov_b32_e32 v10, s4
	v_mov_b32_e32 v11, s5
	s_sleep 1
	global_store_dwordx2 v[0:1], v[12:13], off
	s_waitcnt_vscnt null, 0x0
	global_atomic_cmpswap_x2 v[4:5], v3, v[10:13], s[6:7] offset:24 glc
	s_waitcnt vmcnt(0)
	v_cmp_eq_u64_e32 vcc_lo, v[4:5], v[12:13]
	v_mov_b32_e32 v13, v5
	v_mov_b32_e32 v12, v4
	s_or_b32 s10, vcc_lo, s10
	s_andn2_b32 exec_lo, exec_lo, s10
	s_cbranch_execnz .LBB1_25
.LBB1_26:
	s_or_b32 exec_lo, exec_lo, s12
	s_lshr_b32 s5, s33, 5
	s_mov_b32 s4, 0
.LBB1_27:                               ; =>This Inner Loop Header: Depth=1
	v_mov_b32_e32 v0, s5
	s_add_i32 s5, s5, 1
	buffer_load_ubyte v0, v0, s[0:3], 0 offen
	s_waitcnt vmcnt(0)
	v_cmp_eq_u16_e32 vcc_lo, 0, v0
	v_mov_b32_e32 v0, s5
	s_or_b32 s4, vcc_lo, s4
	s_andn2_b32 exec_lo, exec_lo, s4
	s_cbranch_execnz .LBB1_27
; %bb.28:
	s_or_b32 exec_lo, exec_lo, s4
	s_lshr_b32 s4, s33, 5
	s_cmp_lg_u32 s4, -1
	s_cbranch_scc0 .LBB1_113
; %bb.29:
	v_lshrrev_b32_e64 v1, 5, s33
	v_and_b32_e32 v5, 2, v14
	v_mov_b32_e32 v17, 0
	v_and_b32_e32 v10, -3, v14
	v_mov_b32_e32 v11, v15
	v_subrev_nc_u32_e32 v0, v1, v0
	v_lshrrev_b32_e64 v38, 5, s33
	v_mov_b32_e32 v18, 2
	v_mov_b32_e32 v19, 1
	s_mov_b32 s15, 0
	v_ashrrev_i32_e32 v1, 31, v0
	s_mov_b32 s14, 0
	s_branch .LBB1_31
.LBB1_30:                               ;   in Loop: Header=BB1_31 Depth=1
	s_or_b32 exec_lo, exec_lo, s12
	v_sub_co_u32 v0, vcc_lo, v0, v39
	v_sub_co_ci_u32_e64 v1, null, v1, v34, vcc_lo
	v_add_nc_u32_e32 v38, v38, v39
	v_cmp_eq_u64_e32 vcc_lo, 0, v[0:1]
	s_or_b32 s14, vcc_lo, s14
	s_andn2_b32 exec_lo, exec_lo, s14
	s_cbranch_execz .LBB1_114
.LBB1_31:                               ; =>This Loop Header: Depth=1
                                        ;     Child Loop BB1_34 Depth 2
                                        ;     Child Loop BB1_42 Depth 2
	;; [unrolled: 1-line block ×11, first 2 shown]
	v_cmp_gt_u64_e32 vcc_lo, 56, v[0:1]
	v_add_nc_u32_e32 v4, 8, v38
	s_mov_b32 s5, exec_lo
	v_cndmask_b32_e32 v39, 56, v0, vcc_lo
	v_cmpx_gt_u64_e32 8, v[0:1]
	s_xor_b32 s5, exec_lo, s5
	s_cbranch_execz .LBB1_37
; %bb.32:                               ;   in Loop: Header=BB1_31 Depth=1
	v_mov_b32_e32 v12, 0
	v_mov_b32_e32 v13, 0
	s_mov_b32 s12, exec_lo
	v_cmpx_ne_u64_e32 0, v[0:1]
	s_cbranch_execz .LBB1_36
; %bb.33:                               ;   in Loop: Header=BB1_31 Depth=1
	v_mov_b32_e32 v12, 0
	v_mov_b32_e32 v13, 0
	s_mov_b64 s[10:11], 0
	s_mov_b32 s13, 0
	s_mov_b32 s16, 0
	.p2align	6
.LBB1_34:                               ;   Parent Loop BB1_31 Depth=1
                                        ; =>  This Inner Loop Header: Depth=2
	v_add_nc_u32_e32 v3, s16, v38
	v_mov_b32_e32 v4, s15
	s_add_i32 s16, s16, 1
	v_cmp_eq_u32_e64 s4, s16, v39
	buffer_load_ubyte v3, v3, s[0:3], 0 offen
	s_waitcnt vmcnt(0)
	v_and_b32_e32 v3, 0xffff, v3
	v_lshlrev_b64 v[3:4], s10, v[3:4]
	s_add_u32 s10, s10, 8
	s_addc_u32 s11, s11, 0
	s_or_b32 s13, s4, s13
	v_or_b32_e32 v13, v4, v13
	v_or_b32_e32 v12, v3, v12
	s_andn2_b32 exec_lo, exec_lo, s13
	s_cbranch_execnz .LBB1_34
; %bb.35:                               ;   in Loop: Header=BB1_31 Depth=1
	s_or_b32 exec_lo, exec_lo, s13
.LBB1_36:                               ;   in Loop: Header=BB1_31 Depth=1
	s_or_b32 exec_lo, exec_lo, s12
	v_mov_b32_e32 v4, v38
.LBB1_37:                               ;   in Loop: Header=BB1_31 Depth=1
	s_or_saveexec_b32 s4, s5
	v_mov_b32_e32 v16, 0
	s_xor_b32 exec_lo, exec_lo, s4
	s_cbranch_execz .LBB1_39
; %bb.38:                               ;   in Loop: Header=BB1_31 Depth=1
	s_clause 0x1
	buffer_load_dword v12, v38, s[0:3], 0 offen
	buffer_load_dword v13, v38, s[0:3], 0 offen offset:4
	v_add_nc_u32_e32 v16, -8, v39
.LBB1_39:                               ;   in Loop: Header=BB1_31 Depth=1
	s_or_b32 exec_lo, exec_lo, s4
	v_add_nc_u32_e32 v3, 8, v4
	s_mov_b32 s5, exec_lo
                                        ; implicit-def: $vgpr20_vgpr21
	v_cmpx_gt_u32_e32 8, v16
	s_xor_b32 s5, exec_lo, s5
	s_cbranch_execz .LBB1_45
; %bb.40:                               ;   in Loop: Header=BB1_31 Depth=1
	v_mov_b32_e32 v20, 0
	v_mov_b32_e32 v21, 0
	s_mov_b32 s12, exec_lo
	v_cmpx_ne_u32_e32 0, v16
	s_cbranch_execz .LBB1_44
; %bb.41:                               ;   in Loop: Header=BB1_31 Depth=1
	v_mov_b32_e32 v20, 0
	v_mov_b32_e32 v21, 0
	s_mov_b64 s[10:11], 0
	s_mov_b32 s13, 0
	s_mov_b32 s16, 0
	.p2align	6
.LBB1_42:                               ;   Parent Loop BB1_31 Depth=1
                                        ; =>  This Inner Loop Header: Depth=2
	v_add_nc_u32_e32 v3, s16, v4
	v_mov_b32_e32 v23, s15
	s_add_i32 s16, s16, 1
	v_cmp_eq_u32_e64 s4, s16, v16
	buffer_load_ubyte v3, v3, s[0:3], 0 offen
	s_waitcnt vmcnt(0)
	v_and_b32_e32 v22, 0xffff, v3
	v_lshlrev_b64 v[22:23], s10, v[22:23]
	s_add_u32 s10, s10, 8
	s_addc_u32 s11, s11, 0
	s_or_b32 s13, s4, s13
	v_or_b32_e32 v21, v23, v21
	v_or_b32_e32 v20, v22, v20
	s_andn2_b32 exec_lo, exec_lo, s13
	s_cbranch_execnz .LBB1_42
; %bb.43:                               ;   in Loop: Header=BB1_31 Depth=1
	s_or_b32 exec_lo, exec_lo, s13
.LBB1_44:                               ;   in Loop: Header=BB1_31 Depth=1
	s_or_b32 exec_lo, exec_lo, s12
	v_mov_b32_e32 v3, v4
                                        ; implicit-def: $vgpr16
.LBB1_45:                               ;   in Loop: Header=BB1_31 Depth=1
	s_or_saveexec_b32 s4, s5
	v_mov_b32_e32 v24, 0
	s_xor_b32 exec_lo, exec_lo, s4
	s_cbranch_execz .LBB1_47
; %bb.46:                               ;   in Loop: Header=BB1_31 Depth=1
	s_clause 0x1
	buffer_load_dword v20, v4, s[0:3], 0 offen
	buffer_load_dword v21, v4, s[0:3], 0 offen offset:4
	v_add_nc_u32_e32 v24, -8, v16
.LBB1_47:                               ;   in Loop: Header=BB1_31 Depth=1
	s_or_b32 exec_lo, exec_lo, s4
	v_add_nc_u32_e32 v4, 8, v3
	s_mov_b32 s5, exec_lo
	v_cmpx_gt_u32_e32 8, v24
	s_xor_b32 s5, exec_lo, s5
	s_cbranch_execz .LBB1_53
; %bb.48:                               ;   in Loop: Header=BB1_31 Depth=1
	v_mov_b32_e32 v22, 0
	v_mov_b32_e32 v23, 0
	s_mov_b32 s12, exec_lo
	v_cmpx_ne_u32_e32 0, v24
	s_cbranch_execz .LBB1_52
; %bb.49:                               ;   in Loop: Header=BB1_31 Depth=1
	v_mov_b32_e32 v22, 0
	v_mov_b32_e32 v23, 0
	s_mov_b64 s[10:11], 0
	s_mov_b32 s13, 0
	s_mov_b32 s16, 0
	.p2align	6
.LBB1_50:                               ;   Parent Loop BB1_31 Depth=1
                                        ; =>  This Inner Loop Header: Depth=2
	v_add_nc_u32_e32 v4, s16, v3
	v_mov_b32_e32 v26, s15
	s_add_i32 s16, s16, 1
	v_cmp_eq_u32_e64 s4, s16, v24
	buffer_load_ubyte v4, v4, s[0:3], 0 offen
	s_waitcnt vmcnt(0)
	v_and_b32_e32 v25, 0xffff, v4
	v_lshlrev_b64 v[25:26], s10, v[25:26]
	s_add_u32 s10, s10, 8
	s_addc_u32 s11, s11, 0
	s_or_b32 s13, s4, s13
	v_or_b32_e32 v23, v26, v23
	v_or_b32_e32 v22, v25, v22
	s_andn2_b32 exec_lo, exec_lo, s13
	s_cbranch_execnz .LBB1_50
; %bb.51:                               ;   in Loop: Header=BB1_31 Depth=1
	s_or_b32 exec_lo, exec_lo, s13
.LBB1_52:                               ;   in Loop: Header=BB1_31 Depth=1
	s_or_b32 exec_lo, exec_lo, s12
	v_mov_b32_e32 v4, v3
                                        ; implicit-def: $vgpr24
.LBB1_53:                               ;   in Loop: Header=BB1_31 Depth=1
	s_or_saveexec_b32 s4, s5
	v_mov_b32_e32 v16, 0
	s_xor_b32 exec_lo, exec_lo, s4
	s_cbranch_execz .LBB1_55
; %bb.54:                               ;   in Loop: Header=BB1_31 Depth=1
	s_clause 0x1
	buffer_load_dword v22, v3, s[0:3], 0 offen
	buffer_load_dword v23, v3, s[0:3], 0 offen offset:4
	v_add_nc_u32_e32 v16, -8, v24
.LBB1_55:                               ;   in Loop: Header=BB1_31 Depth=1
	s_or_b32 exec_lo, exec_lo, s4
	v_add_nc_u32_e32 v3, 8, v4
	s_mov_b32 s5, exec_lo
                                        ; implicit-def: $vgpr24_vgpr25
	v_cmpx_gt_u32_e32 8, v16
	s_xor_b32 s5, exec_lo, s5
	s_cbranch_execz .LBB1_61
; %bb.56:                               ;   in Loop: Header=BB1_31 Depth=1
	v_mov_b32_e32 v24, 0
	v_mov_b32_e32 v25, 0
	s_mov_b32 s12, exec_lo
	v_cmpx_ne_u32_e32 0, v16
	s_cbranch_execz .LBB1_60
; %bb.57:                               ;   in Loop: Header=BB1_31 Depth=1
	v_mov_b32_e32 v24, 0
	v_mov_b32_e32 v25, 0
	s_mov_b64 s[10:11], 0
	s_mov_b32 s13, 0
	s_mov_b32 s16, 0
	.p2align	6
.LBB1_58:                               ;   Parent Loop BB1_31 Depth=1
                                        ; =>  This Inner Loop Header: Depth=2
	v_add_nc_u32_e32 v3, s16, v4
	v_mov_b32_e32 v27, s15
	s_add_i32 s16, s16, 1
	v_cmp_eq_u32_e64 s4, s16, v16
	buffer_load_ubyte v3, v3, s[0:3], 0 offen
	s_waitcnt vmcnt(0)
	v_and_b32_e32 v26, 0xffff, v3
	v_lshlrev_b64 v[26:27], s10, v[26:27]
	s_add_u32 s10, s10, 8
	s_addc_u32 s11, s11, 0
	s_or_b32 s13, s4, s13
	v_or_b32_e32 v25, v27, v25
	v_or_b32_e32 v24, v26, v24
	s_andn2_b32 exec_lo, exec_lo, s13
	s_cbranch_execnz .LBB1_58
; %bb.59:                               ;   in Loop: Header=BB1_31 Depth=1
	s_or_b32 exec_lo, exec_lo, s13
.LBB1_60:                               ;   in Loop: Header=BB1_31 Depth=1
	s_or_b32 exec_lo, exec_lo, s12
	v_mov_b32_e32 v3, v4
                                        ; implicit-def: $vgpr16
.LBB1_61:                               ;   in Loop: Header=BB1_31 Depth=1
	s_or_saveexec_b32 s4, s5
	v_mov_b32_e32 v28, 0
	s_xor_b32 exec_lo, exec_lo, s4
	s_cbranch_execz .LBB1_63
; %bb.62:                               ;   in Loop: Header=BB1_31 Depth=1
	s_clause 0x1
	buffer_load_dword v24, v4, s[0:3], 0 offen
	buffer_load_dword v25, v4, s[0:3], 0 offen offset:4
	v_add_nc_u32_e32 v28, -8, v16
.LBB1_63:                               ;   in Loop: Header=BB1_31 Depth=1
	s_or_b32 exec_lo, exec_lo, s4
	v_add_nc_u32_e32 v4, 8, v3
	s_mov_b32 s5, exec_lo
	v_cmpx_gt_u32_e32 8, v28
	s_xor_b32 s5, exec_lo, s5
	s_cbranch_execz .LBB1_69
; %bb.64:                               ;   in Loop: Header=BB1_31 Depth=1
	v_mov_b32_e32 v26, 0
	v_mov_b32_e32 v27, 0
	s_mov_b32 s12, exec_lo
	v_cmpx_ne_u32_e32 0, v28
	s_cbranch_execz .LBB1_68
; %bb.65:                               ;   in Loop: Header=BB1_31 Depth=1
	v_mov_b32_e32 v26, 0
	v_mov_b32_e32 v27, 0
	s_mov_b64 s[10:11], 0
	s_mov_b32 s13, 0
	s_mov_b32 s16, 0
	.p2align	6
.LBB1_66:                               ;   Parent Loop BB1_31 Depth=1
                                        ; =>  This Inner Loop Header: Depth=2
	v_add_nc_u32_e32 v4, s16, v3
	v_mov_b32_e32 v30, s15
	s_add_i32 s16, s16, 1
	v_cmp_eq_u32_e64 s4, s16, v28
	buffer_load_ubyte v4, v4, s[0:3], 0 offen
	s_waitcnt vmcnt(0)
	v_and_b32_e32 v29, 0xffff, v4
	v_lshlrev_b64 v[29:30], s10, v[29:30]
	s_add_u32 s10, s10, 8
	s_addc_u32 s11, s11, 0
	s_or_b32 s13, s4, s13
	v_or_b32_e32 v27, v30, v27
	v_or_b32_e32 v26, v29, v26
	s_andn2_b32 exec_lo, exec_lo, s13
	s_cbranch_execnz .LBB1_66
; %bb.67:                               ;   in Loop: Header=BB1_31 Depth=1
	s_or_b32 exec_lo, exec_lo, s13
.LBB1_68:                               ;   in Loop: Header=BB1_31 Depth=1
	s_or_b32 exec_lo, exec_lo, s12
	v_mov_b32_e32 v4, v3
                                        ; implicit-def: $vgpr28
.LBB1_69:                               ;   in Loop: Header=BB1_31 Depth=1
	s_or_saveexec_b32 s4, s5
	v_mov_b32_e32 v16, 0
	s_xor_b32 exec_lo, exec_lo, s4
	s_cbranch_execz .LBB1_71
; %bb.70:                               ;   in Loop: Header=BB1_31 Depth=1
	s_clause 0x1
	buffer_load_dword v26, v3, s[0:3], 0 offen
	buffer_load_dword v27, v3, s[0:3], 0 offen offset:4
	v_add_nc_u32_e32 v16, -8, v28
.LBB1_71:                               ;   in Loop: Header=BB1_31 Depth=1
	s_or_b32 exec_lo, exec_lo, s4
	v_add_nc_u32_e32 v3, 8, v4
	s_mov_b32 s5, exec_lo
                                        ; implicit-def: $vgpr28_vgpr29
	v_cmpx_gt_u32_e32 8, v16
	s_xor_b32 s5, exec_lo, s5
	s_cbranch_execz .LBB1_77
; %bb.72:                               ;   in Loop: Header=BB1_31 Depth=1
	v_mov_b32_e32 v28, 0
	v_mov_b32_e32 v29, 0
	s_mov_b32 s12, exec_lo
	v_cmpx_ne_u32_e32 0, v16
	s_cbranch_execz .LBB1_76
; %bb.73:                               ;   in Loop: Header=BB1_31 Depth=1
	v_mov_b32_e32 v28, 0
	v_mov_b32_e32 v29, 0
	s_mov_b64 s[10:11], 0
	s_mov_b32 s13, 0
	s_mov_b32 s16, 0
	.p2align	6
.LBB1_74:                               ;   Parent Loop BB1_31 Depth=1
                                        ; =>  This Inner Loop Header: Depth=2
	v_add_nc_u32_e32 v3, s16, v4
	v_mov_b32_e32 v31, s15
	s_add_i32 s16, s16, 1
	v_cmp_eq_u32_e64 s4, s16, v16
	buffer_load_ubyte v3, v3, s[0:3], 0 offen
	s_waitcnt vmcnt(0)
	v_and_b32_e32 v30, 0xffff, v3
	v_lshlrev_b64 v[30:31], s10, v[30:31]
	s_add_u32 s10, s10, 8
	s_addc_u32 s11, s11, 0
	s_or_b32 s13, s4, s13
	v_or_b32_e32 v29, v31, v29
	v_or_b32_e32 v28, v30, v28
	s_andn2_b32 exec_lo, exec_lo, s13
	s_cbranch_execnz .LBB1_74
; %bb.75:                               ;   in Loop: Header=BB1_31 Depth=1
	s_or_b32 exec_lo, exec_lo, s13
.LBB1_76:                               ;   in Loop: Header=BB1_31 Depth=1
	s_or_b32 exec_lo, exec_lo, s12
	v_mov_b32_e32 v3, v4
                                        ; implicit-def: $vgpr16
.LBB1_77:                               ;   in Loop: Header=BB1_31 Depth=1
	s_or_saveexec_b32 s4, s5
	v_mov_b32_e32 v32, 0
	s_xor_b32 exec_lo, exec_lo, s4
	s_cbranch_execz .LBB1_79
; %bb.78:                               ;   in Loop: Header=BB1_31 Depth=1
	s_clause 0x1
	buffer_load_dword v28, v4, s[0:3], 0 offen
	buffer_load_dword v29, v4, s[0:3], 0 offen offset:4
	v_add_nc_u32_e32 v32, -8, v16
.LBB1_79:                               ;   in Loop: Header=BB1_31 Depth=1
	s_or_b32 exec_lo, exec_lo, s4
	s_mov_b32 s5, exec_lo
	v_cmpx_gt_u32_e32 8, v32
	s_xor_b32 s5, exec_lo, s5
	s_cbranch_execz .LBB1_85
; %bb.80:                               ;   in Loop: Header=BB1_31 Depth=1
	v_mov_b32_e32 v30, 0
	v_mov_b32_e32 v31, 0
	s_mov_b32 s12, exec_lo
	v_cmpx_ne_u32_e32 0, v32
	s_cbranch_execz .LBB1_84
; %bb.81:                               ;   in Loop: Header=BB1_31 Depth=1
	v_mov_b32_e32 v30, 0
	v_mov_b32_e32 v31, 0
	s_mov_b64 s[10:11], 0
	s_mov_b32 s13, 0
	.p2align	6
.LBB1_82:                               ;   Parent Loop BB1_31 Depth=1
                                        ; =>  This Inner Loop Header: Depth=2
	buffer_load_ubyte v4, v3, s[0:3], 0 offen
	v_mov_b32_e32 v34, s15
	v_add_nc_u32_e32 v32, -1, v32
	v_add_nc_u32_e32 v3, 1, v3
	v_cmp_eq_u32_e64 s4, 0, v32
	s_waitcnt vmcnt(0)
	v_and_b32_e32 v33, 0xffff, v4
	v_lshlrev_b64 v[33:34], s10, v[33:34]
	s_add_u32 s10, s10, 8
	s_addc_u32 s11, s11, 0
	s_or_b32 s13, s4, s13
	v_or_b32_e32 v31, v34, v31
	v_or_b32_e32 v30, v33, v30
	s_andn2_b32 exec_lo, exec_lo, s13
	s_cbranch_execnz .LBB1_82
; %bb.83:                               ;   in Loop: Header=BB1_31 Depth=1
	s_or_b32 exec_lo, exec_lo, s13
.LBB1_84:                               ;   in Loop: Header=BB1_31 Depth=1
	s_or_b32 exec_lo, exec_lo, s12
                                        ; implicit-def: $vgpr3
.LBB1_85:                               ;   in Loop: Header=BB1_31 Depth=1
	s_andn2_saveexec_b32 s4, s5
	s_cbranch_execz .LBB1_87
; %bb.86:                               ;   in Loop: Header=BB1_31 Depth=1
	s_clause 0x1
	buffer_load_dword v30, v3, s[0:3], 0 offen
	buffer_load_dword v31, v3, s[0:3], 0 offen offset:4
.LBB1_87:                               ;   in Loop: Header=BB1_31 Depth=1
	s_or_b32 exec_lo, exec_lo, s4
	v_readfirstlane_b32 s4, v36
	v_mov_b32_e32 v3, 0
	v_mov_b32_e32 v4, 0
	v_cmp_eq_u32_e64 s4, s4, v36
	s_and_saveexec_b32 s10, s4
	s_cbranch_execz .LBB1_93
; %bb.88:                               ;   in Loop: Header=BB1_31 Depth=1
	global_load_dwordx2 v[34:35], v17, s[6:7] offset:24 glc dlc
	s_waitcnt vmcnt(0)
	buffer_gl1_inv
	buffer_gl0_inv
	s_clause 0x1
	global_load_dwordx2 v[3:4], v17, s[6:7] offset:40
	global_load_dwordx2 v[32:33], v17, s[6:7]
	s_mov_b32 s11, exec_lo
	s_waitcnt vmcnt(1)
	v_and_b32_e32 v4, v4, v35
	v_and_b32_e32 v3, v3, v34
	v_mul_lo_u32 v4, v4, 24
	v_mul_hi_u32 v16, v3, 24
	v_mul_lo_u32 v3, v3, 24
	v_add_nc_u32_e32 v4, v16, v4
	s_waitcnt vmcnt(0)
	v_add_co_u32 v3, s5, v32, v3
	v_add_co_ci_u32_e64 v4, null, v33, v4, s5
	global_load_dwordx2 v[32:33], v[3:4], off glc dlc
	s_waitcnt vmcnt(0)
	global_atomic_cmpswap_x2 v[3:4], v17, v[32:35], s[6:7] offset:24 glc
	s_waitcnt vmcnt(0)
	buffer_gl1_inv
	buffer_gl0_inv
	v_cmpx_ne_u64_e64 v[3:4], v[34:35]
	s_cbranch_execz .LBB1_92
; %bb.89:                               ;   in Loop: Header=BB1_31 Depth=1
	s_mov_b32 s12, 0
	.p2align	6
.LBB1_90:                               ;   Parent Loop BB1_31 Depth=1
                                        ; =>  This Inner Loop Header: Depth=2
	s_sleep 1
	s_clause 0x1
	global_load_dwordx2 v[32:33], v17, s[6:7] offset:40
	global_load_dwordx2 v[48:49], v17, s[6:7]
	v_mov_b32_e32 v35, v4
	v_mov_b32_e32 v34, v3
	s_waitcnt vmcnt(1)
	v_and_b32_e32 v3, v32, v34
	v_and_b32_e32 v16, v33, v35
	s_waitcnt vmcnt(0)
	v_mad_u64_u32 v[3:4], null, v3, 24, v[48:49]
	v_mad_u64_u32 v[32:33], null, v16, 24, v[4:5]
	v_mov_b32_e32 v4, v32
	global_load_dwordx2 v[32:33], v[3:4], off glc dlc
	s_waitcnt vmcnt(0)
	global_atomic_cmpswap_x2 v[3:4], v17, v[32:35], s[6:7] offset:24 glc
	s_waitcnt vmcnt(0)
	buffer_gl1_inv
	buffer_gl0_inv
	v_cmp_eq_u64_e64 s5, v[3:4], v[34:35]
	s_or_b32 s12, s5, s12
	s_andn2_b32 exec_lo, exec_lo, s12
	s_cbranch_execnz .LBB1_90
; %bb.91:                               ;   in Loop: Header=BB1_31 Depth=1
	s_or_b32 exec_lo, exec_lo, s12
.LBB1_92:                               ;   in Loop: Header=BB1_31 Depth=1
	s_or_b32 exec_lo, exec_lo, s11
.LBB1_93:                               ;   in Loop: Header=BB1_31 Depth=1
	s_or_b32 exec_lo, exec_lo, s10
	s_clause 0x1
	global_load_dwordx2 v[48:49], v17, s[6:7] offset:40
	global_load_dwordx4 v[32:35], v17, s[6:7]
	v_readfirstlane_b32 s11, v4
	v_readfirstlane_b32 s10, v3
	s_mov_b32 s16, exec_lo
	s_waitcnt vmcnt(1)
	v_readfirstlane_b32 s12, v48
	v_readfirstlane_b32 s13, v49
	s_and_b64 s[12:13], s[12:13], s[10:11]
	s_mul_i32 s5, s13, 24
	s_mul_hi_u32 s17, s12, 24
	s_mul_i32 s18, s12, 24
	s_add_i32 s17, s17, s5
	s_waitcnt vmcnt(0)
	v_add_co_u32 v3, s5, v32, s18
	v_add_co_ci_u32_e64 v4, null, s17, v33, s5
	s_and_saveexec_b32 s5, s4
	s_cbranch_execz .LBB1_95
; %bb.94:                               ;   in Loop: Header=BB1_31 Depth=1
	v_mov_b32_e32 v16, s16
	global_store_dwordx4 v[3:4], v[16:19], off offset:8
.LBB1_95:                               ;   in Loop: Header=BB1_31 Depth=1
	s_or_b32 exec_lo, exec_lo, s5
	v_cmp_gt_u64_e64 s5, 57, v[0:1]
	v_and_b32_e32 v10, 0xffffff1f, v10
	s_lshl_b64 s[12:13], s[12:13], 12
	v_cndmask_b32_e64 v16, 0, v5, s5
	v_add_co_u32 v48, s5, v34, s12
	v_add_co_ci_u32_e64 v35, null, s13, v35, s5
	v_lshl_add_u32 v34, v39, 2, 28
	v_or_b32_e32 v10, v10, v16
	v_readfirstlane_b32 s12, v48
	v_readfirstlane_b32 s13, v35
	v_and_or_b32 v10, 0x1e0, v34, v10
	v_cndmask_b32_e32 v34, 0, v1, vcc_lo
	global_store_dwordx4 v37, v[20:23], s[12:13] offset:16
	global_store_dwordx4 v37, v[10:13], s[12:13]
	global_store_dwordx4 v37, v[24:27], s[12:13] offset:32
	global_store_dwordx4 v37, v[28:31], s[12:13] offset:48
	s_and_saveexec_b32 s5, s4
	s_cbranch_execz .LBB1_103
; %bb.96:                               ;   in Loop: Header=BB1_31 Depth=1
	s_clause 0x1
	global_load_dwordx2 v[24:25], v17, s[6:7] offset:32 glc dlc
	global_load_dwordx2 v[10:11], v17, s[6:7] offset:40
	v_mov_b32_e32 v22, s10
	v_mov_b32_e32 v23, s11
	s_waitcnt vmcnt(0)
	v_readfirstlane_b32 s12, v10
	v_readfirstlane_b32 s13, v11
	s_and_b64 s[12:13], s[12:13], s[10:11]
	s_mul_i32 s13, s13, 24
	s_mul_hi_u32 s16, s12, 24
	s_mul_i32 s12, s12, 24
	s_add_i32 s16, s16, s13
	v_add_co_u32 v20, vcc_lo, v32, s12
	v_add_co_ci_u32_e64 v21, null, s16, v33, vcc_lo
	s_mov_b32 s12, exec_lo
	global_store_dwordx2 v[20:21], v[24:25], off
	s_waitcnt_vscnt null, 0x0
	global_atomic_cmpswap_x2 v[12:13], v17, v[22:25], s[6:7] offset:32 glc
	s_waitcnt vmcnt(0)
	v_cmpx_ne_u64_e64 v[12:13], v[24:25]
	s_cbranch_execz .LBB1_99
; %bb.97:                               ;   in Loop: Header=BB1_31 Depth=1
	s_mov_b32 s13, 0
.LBB1_98:                               ;   Parent Loop BB1_31 Depth=1
                                        ; =>  This Inner Loop Header: Depth=2
	v_mov_b32_e32 v10, s10
	v_mov_b32_e32 v11, s11
	s_sleep 1
	global_store_dwordx2 v[20:21], v[12:13], off
	s_waitcnt_vscnt null, 0x0
	global_atomic_cmpswap_x2 v[10:11], v17, v[10:13], s[6:7] offset:32 glc
	s_waitcnt vmcnt(0)
	v_cmp_eq_u64_e32 vcc_lo, v[10:11], v[12:13]
	v_mov_b32_e32 v13, v11
	v_mov_b32_e32 v12, v10
	s_or_b32 s13, vcc_lo, s13
	s_andn2_b32 exec_lo, exec_lo, s13
	s_cbranch_execnz .LBB1_98
.LBB1_99:                               ;   in Loop: Header=BB1_31 Depth=1
	s_or_b32 exec_lo, exec_lo, s12
	global_load_dwordx2 v[10:11], v17, s[6:7] offset:16
	s_mov_b32 s13, exec_lo
	s_mov_b32 s12, exec_lo
	v_mbcnt_lo_u32_b32 v12, s13, 0
	v_cmpx_eq_u32_e32 0, v12
	s_cbranch_execz .LBB1_101
; %bb.100:                              ;   in Loop: Header=BB1_31 Depth=1
	s_bcnt1_i32_b32 s13, s13
	v_mov_b32_e32 v16, s13
	s_waitcnt vmcnt(0)
	global_atomic_add_x2 v[10:11], v[16:17], off offset:8
.LBB1_101:                              ;   in Loop: Header=BB1_31 Depth=1
	s_or_b32 exec_lo, exec_lo, s12
	s_waitcnt vmcnt(0)
	global_load_dwordx2 v[12:13], v[10:11], off offset:16
	s_waitcnt vmcnt(0)
	v_cmp_eq_u64_e32 vcc_lo, 0, v[12:13]
	s_cbranch_vccnz .LBB1_103
; %bb.102:                              ;   in Loop: Header=BB1_31 Depth=1
	global_load_dword v16, v[10:11], off offset:24
	s_waitcnt vmcnt(0)
	v_readfirstlane_b32 s12, v16
	s_waitcnt_vscnt null, 0x0
	global_store_dwordx2 v[12:13], v[16:17], off
	s_and_b32 m0, s12, 0x7fffff
	s_sendmsg sendmsg(MSG_INTERRUPT)
.LBB1_103:                              ;   in Loop: Header=BB1_31 Depth=1
	s_or_b32 exec_lo, exec_lo, s5
	v_add_co_u32 v10, vcc_lo, v48, v37
	v_add_co_ci_u32_e64 v11, null, 0, v35, vcc_lo
	s_branch .LBB1_107
	.p2align	6
.LBB1_104:                              ;   in Loop: Header=BB1_107 Depth=2
	s_or_b32 exec_lo, exec_lo, s5
	v_readfirstlane_b32 s5, v12
	s_cmp_eq_u32 s5, 0
	s_cbranch_scc1 .LBB1_106
; %bb.105:                              ;   in Loop: Header=BB1_107 Depth=2
	s_sleep 1
	s_cbranch_execnz .LBB1_107
	s_branch .LBB1_109
	.p2align	6
.LBB1_106:                              ;   in Loop: Header=BB1_31 Depth=1
	s_branch .LBB1_109
.LBB1_107:                              ;   Parent Loop BB1_31 Depth=1
                                        ; =>  This Inner Loop Header: Depth=2
	v_mov_b32_e32 v12, 1
	s_and_saveexec_b32 s5, s4
	s_cbranch_execz .LBB1_104
; %bb.108:                              ;   in Loop: Header=BB1_107 Depth=2
	global_load_dword v12, v[3:4], off offset:20 glc dlc
	s_waitcnt vmcnt(0)
	buffer_gl1_inv
	buffer_gl0_inv
	v_and_b32_e32 v12, 1, v12
	s_branch .LBB1_104
.LBB1_109:                              ;   in Loop: Header=BB1_31 Depth=1
	global_load_dwordx2 v[10:11], v[10:11], off
	s_and_saveexec_b32 s12, s4
	s_cbranch_execz .LBB1_30
; %bb.110:                              ;   in Loop: Header=BB1_31 Depth=1
	s_clause 0x2
	global_load_dwordx2 v[3:4], v17, s[6:7] offset:40
	global_load_dwordx2 v[24:25], v17, s[6:7] offset:24 glc dlc
	global_load_dwordx2 v[12:13], v17, s[6:7]
	s_waitcnt vmcnt(2)
	v_readfirstlane_b32 s16, v3
	v_readfirstlane_b32 s17, v4
	s_add_u32 s13, s16, 1
	s_addc_u32 s18, s17, 0
	s_add_u32 s4, s13, s10
	s_addc_u32 s5, s18, s11
	s_cmp_eq_u64 s[4:5], 0
	s_cselect_b32 s5, s18, s5
	s_cselect_b32 s4, s13, s4
	v_mov_b32_e32 v23, s5
	s_and_b64 s[10:11], s[4:5], s[16:17]
	v_mov_b32_e32 v22, s4
	s_mul_i32 s11, s11, 24
	s_mul_hi_u32 s13, s10, 24
	s_mul_i32 s10, s10, 24
	s_add_i32 s13, s13, s11
	s_waitcnt vmcnt(0)
	v_add_co_u32 v3, vcc_lo, v12, s10
	v_add_co_ci_u32_e64 v4, null, s13, v13, vcc_lo
	global_store_dwordx2 v[3:4], v[24:25], off
	s_waitcnt_vscnt null, 0x0
	global_atomic_cmpswap_x2 v[22:23], v17, v[22:25], s[6:7] offset:24 glc
	s_waitcnt vmcnt(0)
	v_cmp_ne_u64_e32 vcc_lo, v[22:23], v[24:25]
	s_and_b32 exec_lo, exec_lo, vcc_lo
	s_cbranch_execz .LBB1_30
; %bb.111:                              ;   in Loop: Header=BB1_31 Depth=1
	s_mov_b32 s10, 0
.LBB1_112:                              ;   Parent Loop BB1_31 Depth=1
                                        ; =>  This Inner Loop Header: Depth=2
	v_mov_b32_e32 v20, s4
	v_mov_b32_e32 v21, s5
	s_sleep 1
	global_store_dwordx2 v[3:4], v[22:23], off
	s_waitcnt_vscnt null, 0x0
	global_atomic_cmpswap_x2 v[12:13], v17, v[20:23], s[6:7] offset:24 glc
	s_waitcnt vmcnt(0)
	v_cmp_eq_u64_e32 vcc_lo, v[12:13], v[22:23]
	v_mov_b32_e32 v23, v13
	v_mov_b32_e32 v22, v12
	s_or_b32 s10, vcc_lo, s10
	s_andn2_b32 exec_lo, exec_lo, s10
	s_cbranch_execnz .LBB1_112
	s_branch .LBB1_30
.LBB1_113:
                                        ; implicit-def: $vgpr10_vgpr11
	s_cbranch_execnz .LBB1_115
	s_branch .LBB1_142
.LBB1_114:
	s_or_b32 exec_lo, exec_lo, s14
	s_branch .LBB1_142
.LBB1_115:
	v_readfirstlane_b32 s4, v36
	v_mov_b32_e32 v0, 0
	v_mov_b32_e32 v1, 0
	v_cmp_eq_u32_e64 s4, s4, v36
	s_and_saveexec_b32 s5, s4
	s_cbranch_execz .LBB1_121
; %bb.116:
	v_mov_b32_e32 v3, 0
	s_mov_b32 s10, exec_lo
	global_load_dwordx2 v[12:13], v3, s[6:7] offset:24 glc dlc
	s_waitcnt vmcnt(0)
	buffer_gl1_inv
	buffer_gl0_inv
	s_clause 0x1
	global_load_dwordx2 v[0:1], v3, s[6:7] offset:40
	global_load_dwordx2 v[4:5], v3, s[6:7]
	s_waitcnt vmcnt(1)
	v_and_b32_e32 v1, v1, v13
	v_and_b32_e32 v0, v0, v12
	v_mul_lo_u32 v1, v1, 24
	v_mul_hi_u32 v10, v0, 24
	v_mul_lo_u32 v0, v0, 24
	v_add_nc_u32_e32 v1, v10, v1
	s_waitcnt vmcnt(0)
	v_add_co_u32 v0, vcc_lo, v4, v0
	v_add_co_ci_u32_e64 v1, null, v5, v1, vcc_lo
	global_load_dwordx2 v[10:11], v[0:1], off glc dlc
	s_waitcnt vmcnt(0)
	global_atomic_cmpswap_x2 v[0:1], v3, v[10:13], s[6:7] offset:24 glc
	s_waitcnt vmcnt(0)
	buffer_gl1_inv
	buffer_gl0_inv
	v_cmpx_ne_u64_e64 v[0:1], v[12:13]
	s_cbranch_execz .LBB1_120
; %bb.117:
	s_mov_b32 s11, 0
	.p2align	6
.LBB1_118:                              ; =>This Inner Loop Header: Depth=1
	s_sleep 1
	s_clause 0x1
	global_load_dwordx2 v[4:5], v3, s[6:7] offset:40
	global_load_dwordx2 v[10:11], v3, s[6:7]
	v_mov_b32_e32 v13, v1
	v_mov_b32_e32 v12, v0
	s_waitcnt vmcnt(1)
	v_and_b32_e32 v0, v4, v12
	v_and_b32_e32 v4, v5, v13
	s_waitcnt vmcnt(0)
	v_mad_u64_u32 v[0:1], null, v0, 24, v[10:11]
	v_mad_u64_u32 v[4:5], null, v4, 24, v[1:2]
	v_mov_b32_e32 v1, v4
	global_load_dwordx2 v[10:11], v[0:1], off glc dlc
	s_waitcnt vmcnt(0)
	global_atomic_cmpswap_x2 v[0:1], v3, v[10:13], s[6:7] offset:24 glc
	s_waitcnt vmcnt(0)
	buffer_gl1_inv
	buffer_gl0_inv
	v_cmp_eq_u64_e32 vcc_lo, v[0:1], v[12:13]
	s_or_b32 s11, vcc_lo, s11
	s_andn2_b32 exec_lo, exec_lo, s11
	s_cbranch_execnz .LBB1_118
; %bb.119:
	s_or_b32 exec_lo, exec_lo, s11
.LBB1_120:
	s_or_b32 exec_lo, exec_lo, s10
.LBB1_121:
	s_or_b32 exec_lo, exec_lo, s5
	v_mov_b32_e32 v16, 0
	v_readfirstlane_b32 s11, v1
	v_readfirstlane_b32 s10, v0
	s_mov_b32 s5, exec_lo
	s_clause 0x1
	global_load_dwordx2 v[3:4], v16, s[6:7] offset:40
	global_load_dwordx4 v[10:13], v16, s[6:7]
	s_waitcnt vmcnt(1)
	v_readfirstlane_b32 s12, v3
	v_readfirstlane_b32 s13, v4
	s_and_b64 s[12:13], s[12:13], s[10:11]
	s_mul_i32 s14, s13, 24
	s_mul_hi_u32 s15, s12, 24
	s_mul_i32 s16, s12, 24
	s_add_i32 s15, s15, s14
	s_waitcnt vmcnt(0)
	v_add_co_u32 v0, vcc_lo, v10, s16
	v_add_co_ci_u32_e64 v1, null, s15, v11, vcc_lo
	s_and_saveexec_b32 s14, s4
	s_cbranch_execz .LBB1_123
; %bb.122:
	v_mov_b32_e32 v17, s5
	v_mov_b32_e32 v18, v16
	;; [unrolled: 1-line block ×4, first 2 shown]
	global_store_dwordx4 v[0:1], v[17:20], off offset:8
.LBB1_123:
	s_or_b32 exec_lo, exec_lo, s14
	s_lshl_b64 s[12:13], s[12:13], 12
	v_and_or_b32 v14, 0xffffff1f, v14, 32
	v_add_co_u32 v3, vcc_lo, v12, s12
	v_add_co_ci_u32_e64 v4, null, s13, v13, vcc_lo
	s_mov_b32 s12, 0
	v_readfirstlane_b32 s16, v3
	s_mov_b32 s15, s12
	v_add_co_u32 v3, vcc_lo, v3, v37
	s_mov_b32 s13, s12
	s_mov_b32 s14, s12
	v_mov_b32_e32 v17, v16
	v_readfirstlane_b32 s17, v4
	v_mov_b32_e32 v21, s15
	v_add_co_ci_u32_e64 v4, null, 0, v4, vcc_lo
	v_mov_b32_e32 v20, s14
	v_mov_b32_e32 v19, s13
	;; [unrolled: 1-line block ×3, first 2 shown]
	global_store_dwordx4 v37, v[14:17], s[16:17]
	global_store_dwordx4 v37, v[18:21], s[16:17] offset:16
	global_store_dwordx4 v37, v[18:21], s[16:17] offset:32
	;; [unrolled: 1-line block ×3, first 2 shown]
	s_and_saveexec_b32 s5, s4
	s_cbranch_execz .LBB1_131
; %bb.124:
	v_mov_b32_e32 v5, 0
	v_mov_b32_e32 v16, s10
	;; [unrolled: 1-line block ×3, first 2 shown]
	s_clause 0x1
	global_load_dwordx2 v[18:19], v5, s[6:7] offset:32 glc dlc
	global_load_dwordx2 v[12:13], v5, s[6:7] offset:40
	s_waitcnt vmcnt(0)
	v_readfirstlane_b32 s12, v12
	v_readfirstlane_b32 s13, v13
	s_and_b64 s[12:13], s[12:13], s[10:11]
	s_mul_i32 s13, s13, 24
	s_mul_hi_u32 s14, s12, 24
	s_mul_i32 s12, s12, 24
	s_add_i32 s14, s14, s13
	v_add_co_u32 v14, vcc_lo, v10, s12
	v_add_co_ci_u32_e64 v15, null, s14, v11, vcc_lo
	s_mov_b32 s12, exec_lo
	global_store_dwordx2 v[14:15], v[18:19], off
	s_waitcnt_vscnt null, 0x0
	global_atomic_cmpswap_x2 v[12:13], v5, v[16:19], s[6:7] offset:32 glc
	s_waitcnt vmcnt(0)
	v_cmpx_ne_u64_e64 v[12:13], v[18:19]
	s_cbranch_execz .LBB1_127
; %bb.125:
	s_mov_b32 s13, 0
.LBB1_126:                              ; =>This Inner Loop Header: Depth=1
	v_mov_b32_e32 v10, s10
	v_mov_b32_e32 v11, s11
	s_sleep 1
	global_store_dwordx2 v[14:15], v[12:13], off
	s_waitcnt_vscnt null, 0x0
	global_atomic_cmpswap_x2 v[10:11], v5, v[10:13], s[6:7] offset:32 glc
	s_waitcnt vmcnt(0)
	v_cmp_eq_u64_e32 vcc_lo, v[10:11], v[12:13]
	v_mov_b32_e32 v13, v11
	v_mov_b32_e32 v12, v10
	s_or_b32 s13, vcc_lo, s13
	s_andn2_b32 exec_lo, exec_lo, s13
	s_cbranch_execnz .LBB1_126
.LBB1_127:
	s_or_b32 exec_lo, exec_lo, s12
	v_mov_b32_e32 v13, 0
	s_mov_b32 s13, exec_lo
	s_mov_b32 s12, exec_lo
	v_mbcnt_lo_u32_b32 v5, s13, 0
	global_load_dwordx2 v[10:11], v13, s[6:7] offset:16
	v_cmpx_eq_u32_e32 0, v5
	s_cbranch_execz .LBB1_129
; %bb.128:
	s_bcnt1_i32_b32 s13, s13
	v_mov_b32_e32 v12, s13
	s_waitcnt vmcnt(0)
	global_atomic_add_x2 v[10:11], v[12:13], off offset:8
.LBB1_129:
	s_or_b32 exec_lo, exec_lo, s12
	s_waitcnt vmcnt(0)
	global_load_dwordx2 v[12:13], v[10:11], off offset:16
	s_waitcnt vmcnt(0)
	v_cmp_eq_u64_e32 vcc_lo, 0, v[12:13]
	s_cbranch_vccnz .LBB1_131
; %bb.130:
	global_load_dword v10, v[10:11], off offset:24
	v_mov_b32_e32 v11, 0
	s_waitcnt vmcnt(0)
	v_readfirstlane_b32 s12, v10
	s_waitcnt_vscnt null, 0x0
	global_store_dwordx2 v[12:13], v[10:11], off
	s_and_b32 m0, s12, 0x7fffff
	s_sendmsg sendmsg(MSG_INTERRUPT)
.LBB1_131:
	s_or_b32 exec_lo, exec_lo, s5
	s_branch .LBB1_135
	.p2align	6
.LBB1_132:                              ;   in Loop: Header=BB1_135 Depth=1
	s_or_b32 exec_lo, exec_lo, s5
	v_readfirstlane_b32 s5, v5
	s_cmp_eq_u32 s5, 0
	s_cbranch_scc1 .LBB1_134
; %bb.133:                              ;   in Loop: Header=BB1_135 Depth=1
	s_sleep 1
	s_cbranch_execnz .LBB1_135
	s_branch .LBB1_137
	.p2align	6
.LBB1_134:
	s_branch .LBB1_137
.LBB1_135:                              ; =>This Inner Loop Header: Depth=1
	v_mov_b32_e32 v5, 1
	s_and_saveexec_b32 s5, s4
	s_cbranch_execz .LBB1_132
; %bb.136:                              ;   in Loop: Header=BB1_135 Depth=1
	global_load_dword v5, v[0:1], off offset:20 glc dlc
	s_waitcnt vmcnt(0)
	buffer_gl1_inv
	buffer_gl0_inv
	v_and_b32_e32 v5, 1, v5
	s_branch .LBB1_132
.LBB1_137:
	global_load_dwordx2 v[10:11], v[3:4], off
	s_and_saveexec_b32 s12, s4
	s_cbranch_execz .LBB1_141
; %bb.138:
	v_mov_b32_e32 v3, 0
	s_clause 0x2
	global_load_dwordx2 v[0:1], v3, s[6:7] offset:40
	global_load_dwordx2 v[16:17], v3, s[6:7] offset:24 glc dlc
	global_load_dwordx2 v[4:5], v3, s[6:7]
	s_waitcnt vmcnt(2)
	v_readfirstlane_b32 s14, v0
	v_readfirstlane_b32 s15, v1
	s_add_u32 s13, s14, 1
	s_addc_u32 s16, s15, 0
	s_add_u32 s4, s13, s10
	s_addc_u32 s5, s16, s11
	s_cmp_eq_u64 s[4:5], 0
	s_cselect_b32 s5, s16, s5
	s_cselect_b32 s4, s13, s4
	v_mov_b32_e32 v15, s5
	s_and_b64 s[10:11], s[4:5], s[14:15]
	v_mov_b32_e32 v14, s4
	s_mul_i32 s11, s11, 24
	s_mul_hi_u32 s13, s10, 24
	s_mul_i32 s10, s10, 24
	s_add_i32 s13, s13, s11
	s_waitcnt vmcnt(0)
	v_add_co_u32 v0, vcc_lo, v4, s10
	v_add_co_ci_u32_e64 v1, null, s13, v5, vcc_lo
	global_store_dwordx2 v[0:1], v[16:17], off
	s_waitcnt_vscnt null, 0x0
	global_atomic_cmpswap_x2 v[14:15], v3, v[14:17], s[6:7] offset:24 glc
	s_waitcnt vmcnt(0)
	v_cmp_ne_u64_e32 vcc_lo, v[14:15], v[16:17]
	s_and_b32 exec_lo, exec_lo, vcc_lo
	s_cbranch_execz .LBB1_141
; %bb.139:
	s_mov_b32 s10, 0
.LBB1_140:                              ; =>This Inner Loop Header: Depth=1
	v_mov_b32_e32 v12, s4
	v_mov_b32_e32 v13, s5
	s_sleep 1
	global_store_dwordx2 v[0:1], v[14:15], off
	s_waitcnt_vscnt null, 0x0
	global_atomic_cmpswap_x2 v[4:5], v3, v[12:15], s[6:7] offset:24 glc
	s_waitcnt vmcnt(0)
	v_cmp_eq_u64_e32 vcc_lo, v[4:5], v[14:15]
	v_mov_b32_e32 v15, v5
	v_mov_b32_e32 v14, v4
	s_or_b32 s10, vcc_lo, s10
	s_andn2_b32 exec_lo, exec_lo, s10
	s_cbranch_execnz .LBB1_140
.LBB1_141:
	s_or_b32 exec_lo, exec_lo, s12
.LBB1_142:
	v_mov_b32_e32 v0, 0
	s_getpc_b64 s[10:11]
	s_add_u32 s10, s10, .str.1@rel32@lo+4
	s_addc_u32 s11, s11, .str.1@rel32@hi+12
.LBB1_143:                              ; =>This Inner Loop Header: Depth=1
	global_load_ubyte v1, v0, s[10:11]
	s_add_u32 s4, s10, 1
	s_addc_u32 s5, s11, 0
	s_mov_b64 s[10:11], s[4:5]
	s_waitcnt vmcnt(0)
	v_cmp_ne_u32_e32 vcc_lo, 0, v1
	s_cbranch_vccnz .LBB1_143
; %bb.144:
	s_getpc_b64 s[10:11]
	s_add_u32 s10, s10, .str.1@rel32@lo+4
	s_addc_u32 s11, s11, .str.1@rel32@hi+12
	s_cmp_lg_u64 s[10:11], 0
	s_cbranch_scc0 .LBB1_222
; %bb.145:
	v_and_b32_e32 v5, 2, v10
	v_mov_b32_e32 v17, 0
	v_and_b32_e32 v12, -3, v10
	v_mov_b32_e32 v13, v11
	v_mov_b32_e32 v18, 2
	;; [unrolled: 1-line block ×3, first 2 shown]
	s_sub_i32 s12, s4, s10
	s_ashr_i32 s13, s12, 31
	s_branch .LBB1_147
.LBB1_146:                              ;   in Loop: Header=BB1_147 Depth=1
	s_or_b32 exec_lo, exec_lo, s18
	s_sub_u32 s12, s12, s14
	s_subb_u32 s13, s13, s15
	s_add_u32 s10, s10, s14
	s_addc_u32 s11, s11, s15
	s_cmp_lg_u64 s[12:13], 0
	s_cbranch_scc0 .LBB1_223
.LBB1_147:                              ; =>This Loop Header: Depth=1
                                        ;     Child Loop BB1_150 Depth 2
                                        ;     Child Loop BB1_157 Depth 2
	;; [unrolled: 1-line block ×11, first 2 shown]
	v_cmp_lt_u64_e64 s4, s[12:13], 56
	v_cmp_gt_u64_e64 s16, s[12:13], 7
	s_and_b32 s4, s4, exec_lo
	s_cselect_b32 s15, s13, 0
	s_cselect_b32 s14, s12, 56
	s_add_u32 s4, s10, 8
	s_addc_u32 s5, s11, 0
	s_and_b32 vcc_lo, exec_lo, s16
	s_cbranch_vccnz .LBB1_152
; %bb.148:                              ;   in Loop: Header=BB1_147 Depth=1
	v_mov_b32_e32 v14, 0
	v_mov_b32_e32 v15, 0
	s_cmp_eq_u64 s[12:13], 0
	s_cbranch_scc1 .LBB1_151
; %bb.149:                              ;   in Loop: Header=BB1_147 Depth=1
	s_lshl_b64 s[4:5], s[14:15], 3
	s_mov_b64 s[16:17], 0
	s_mov_b64 s[18:19], s[10:11]
.LBB1_150:                              ;   Parent Loop BB1_147 Depth=1
                                        ; =>  This Inner Loop Header: Depth=2
	global_load_ubyte v0, v17, s[18:19]
	s_waitcnt vmcnt(0)
	v_and_b32_e32 v16, 0xffff, v0
	v_lshlrev_b64 v[0:1], s16, v[16:17]
	s_add_u32 s16, s16, 8
	s_addc_u32 s17, s17, 0
	s_add_u32 s18, s18, 1
	s_addc_u32 s19, s19, 0
	s_cmp_lg_u32 s4, s16
	v_or_b32_e32 v14, v0, v14
	v_or_b32_e32 v15, v1, v15
	s_cbranch_scc1 .LBB1_150
.LBB1_151:                              ;   in Loop: Header=BB1_147 Depth=1
	s_mov_b64 s[4:5], s[10:11]
	s_mov_b32 s20, 0
	s_cbranch_execz .LBB1_153
	s_branch .LBB1_154
.LBB1_152:                              ;   in Loop: Header=BB1_147 Depth=1
	s_mov_b32 s20, 0
.LBB1_153:                              ;   in Loop: Header=BB1_147 Depth=1
	global_load_dwordx2 v[14:15], v17, s[10:11]
	s_add_i32 s20, s14, -8
.LBB1_154:                              ;   in Loop: Header=BB1_147 Depth=1
	s_add_u32 s16, s4, 8
	s_addc_u32 s17, s5, 0
	s_cmp_gt_u32 s20, 7
	s_cbranch_scc1 .LBB1_159
; %bb.155:                              ;   in Loop: Header=BB1_147 Depth=1
	v_mov_b32_e32 v20, 0
	v_mov_b32_e32 v21, 0
	s_cmp_eq_u32 s20, 0
	s_cbranch_scc1 .LBB1_158
; %bb.156:                              ;   in Loop: Header=BB1_147 Depth=1
	s_mov_b64 s[16:17], 0
	s_mov_b64 s[18:19], 0
.LBB1_157:                              ;   Parent Loop BB1_147 Depth=1
                                        ; =>  This Inner Loop Header: Depth=2
	s_add_u32 s22, s4, s18
	s_addc_u32 s23, s5, s19
	s_add_u32 s18, s18, 1
	global_load_ubyte v0, v17, s[22:23]
	s_addc_u32 s19, s19, 0
	s_waitcnt vmcnt(0)
	v_and_b32_e32 v16, 0xffff, v0
	v_lshlrev_b64 v[0:1], s16, v[16:17]
	s_add_u32 s16, s16, 8
	s_addc_u32 s17, s17, 0
	s_cmp_lg_u32 s20, s18
	v_or_b32_e32 v20, v0, v20
	v_or_b32_e32 v21, v1, v21
	s_cbranch_scc1 .LBB1_157
.LBB1_158:                              ;   in Loop: Header=BB1_147 Depth=1
	s_mov_b64 s[16:17], s[4:5]
	s_mov_b32 s21, 0
	s_cbranch_execz .LBB1_160
	s_branch .LBB1_161
.LBB1_159:                              ;   in Loop: Header=BB1_147 Depth=1
                                        ; implicit-def: $vgpr20_vgpr21
	s_mov_b32 s21, 0
.LBB1_160:                              ;   in Loop: Header=BB1_147 Depth=1
	global_load_dwordx2 v[20:21], v17, s[4:5]
	s_add_i32 s21, s20, -8
.LBB1_161:                              ;   in Loop: Header=BB1_147 Depth=1
	s_add_u32 s4, s16, 8
	s_addc_u32 s5, s17, 0
	s_cmp_gt_u32 s21, 7
	s_cbranch_scc1 .LBB1_166
; %bb.162:                              ;   in Loop: Header=BB1_147 Depth=1
	v_mov_b32_e32 v22, 0
	v_mov_b32_e32 v23, 0
	s_cmp_eq_u32 s21, 0
	s_cbranch_scc1 .LBB1_165
; %bb.163:                              ;   in Loop: Header=BB1_147 Depth=1
	s_mov_b64 s[4:5], 0
	s_mov_b64 s[18:19], 0
.LBB1_164:                              ;   Parent Loop BB1_147 Depth=1
                                        ; =>  This Inner Loop Header: Depth=2
	s_add_u32 s22, s16, s18
	s_addc_u32 s23, s17, s19
	s_add_u32 s18, s18, 1
	global_load_ubyte v0, v17, s[22:23]
	s_addc_u32 s19, s19, 0
	s_waitcnt vmcnt(0)
	v_and_b32_e32 v16, 0xffff, v0
	v_lshlrev_b64 v[0:1], s4, v[16:17]
	s_add_u32 s4, s4, 8
	s_addc_u32 s5, s5, 0
	s_cmp_lg_u32 s21, s18
	v_or_b32_e32 v22, v0, v22
	v_or_b32_e32 v23, v1, v23
	s_cbranch_scc1 .LBB1_164
.LBB1_165:                              ;   in Loop: Header=BB1_147 Depth=1
	s_mov_b64 s[4:5], s[16:17]
	s_mov_b32 s20, 0
	s_cbranch_execz .LBB1_167
	s_branch .LBB1_168
.LBB1_166:                              ;   in Loop: Header=BB1_147 Depth=1
	s_mov_b32 s20, 0
.LBB1_167:                              ;   in Loop: Header=BB1_147 Depth=1
	global_load_dwordx2 v[22:23], v17, s[16:17]
	s_add_i32 s20, s21, -8
.LBB1_168:                              ;   in Loop: Header=BB1_147 Depth=1
	s_add_u32 s16, s4, 8
	s_addc_u32 s17, s5, 0
	s_cmp_gt_u32 s20, 7
	s_cbranch_scc1 .LBB1_173
; %bb.169:                              ;   in Loop: Header=BB1_147 Depth=1
	v_mov_b32_e32 v24, 0
	v_mov_b32_e32 v25, 0
	s_cmp_eq_u32 s20, 0
	s_cbranch_scc1 .LBB1_172
; %bb.170:                              ;   in Loop: Header=BB1_147 Depth=1
	s_mov_b64 s[16:17], 0
	s_mov_b64 s[18:19], 0
.LBB1_171:                              ;   Parent Loop BB1_147 Depth=1
                                        ; =>  This Inner Loop Header: Depth=2
	s_add_u32 s22, s4, s18
	s_addc_u32 s23, s5, s19
	s_add_u32 s18, s18, 1
	global_load_ubyte v0, v17, s[22:23]
	s_addc_u32 s19, s19, 0
	s_waitcnt vmcnt(0)
	v_and_b32_e32 v16, 0xffff, v0
	v_lshlrev_b64 v[0:1], s16, v[16:17]
	s_add_u32 s16, s16, 8
	s_addc_u32 s17, s17, 0
	s_cmp_lg_u32 s20, s18
	v_or_b32_e32 v24, v0, v24
	v_or_b32_e32 v25, v1, v25
	s_cbranch_scc1 .LBB1_171
.LBB1_172:                              ;   in Loop: Header=BB1_147 Depth=1
	s_mov_b64 s[16:17], s[4:5]
	s_mov_b32 s21, 0
	s_cbranch_execz .LBB1_174
	s_branch .LBB1_175
.LBB1_173:                              ;   in Loop: Header=BB1_147 Depth=1
                                        ; implicit-def: $vgpr24_vgpr25
	s_mov_b32 s21, 0
.LBB1_174:                              ;   in Loop: Header=BB1_147 Depth=1
	global_load_dwordx2 v[24:25], v17, s[4:5]
	s_add_i32 s21, s20, -8
.LBB1_175:                              ;   in Loop: Header=BB1_147 Depth=1
	s_add_u32 s4, s16, 8
	s_addc_u32 s5, s17, 0
	s_cmp_gt_u32 s21, 7
	s_cbranch_scc1 .LBB1_180
; %bb.176:                              ;   in Loop: Header=BB1_147 Depth=1
	v_mov_b32_e32 v26, 0
	v_mov_b32_e32 v27, 0
	s_cmp_eq_u32 s21, 0
	s_cbranch_scc1 .LBB1_179
; %bb.177:                              ;   in Loop: Header=BB1_147 Depth=1
	s_mov_b64 s[4:5], 0
	s_mov_b64 s[18:19], 0
.LBB1_178:                              ;   Parent Loop BB1_147 Depth=1
                                        ; =>  This Inner Loop Header: Depth=2
	s_add_u32 s22, s16, s18
	s_addc_u32 s23, s17, s19
	s_add_u32 s18, s18, 1
	global_load_ubyte v0, v17, s[22:23]
	s_addc_u32 s19, s19, 0
	s_waitcnt vmcnt(0)
	v_and_b32_e32 v16, 0xffff, v0
	v_lshlrev_b64 v[0:1], s4, v[16:17]
	s_add_u32 s4, s4, 8
	s_addc_u32 s5, s5, 0
	s_cmp_lg_u32 s21, s18
	v_or_b32_e32 v26, v0, v26
	v_or_b32_e32 v27, v1, v27
	s_cbranch_scc1 .LBB1_178
.LBB1_179:                              ;   in Loop: Header=BB1_147 Depth=1
	s_mov_b64 s[4:5], s[16:17]
	s_mov_b32 s20, 0
	s_cbranch_execz .LBB1_181
	s_branch .LBB1_182
.LBB1_180:                              ;   in Loop: Header=BB1_147 Depth=1
	s_mov_b32 s20, 0
.LBB1_181:                              ;   in Loop: Header=BB1_147 Depth=1
	global_load_dwordx2 v[26:27], v17, s[16:17]
	s_add_i32 s20, s21, -8
.LBB1_182:                              ;   in Loop: Header=BB1_147 Depth=1
	s_add_u32 s16, s4, 8
	s_addc_u32 s17, s5, 0
	s_cmp_gt_u32 s20, 7
	s_cbranch_scc1 .LBB1_187
; %bb.183:                              ;   in Loop: Header=BB1_147 Depth=1
	v_mov_b32_e32 v28, 0
	v_mov_b32_e32 v29, 0
	s_cmp_eq_u32 s20, 0
	s_cbranch_scc1 .LBB1_186
; %bb.184:                              ;   in Loop: Header=BB1_147 Depth=1
	s_mov_b64 s[16:17], 0
	s_mov_b64 s[18:19], 0
.LBB1_185:                              ;   Parent Loop BB1_147 Depth=1
                                        ; =>  This Inner Loop Header: Depth=2
	s_add_u32 s22, s4, s18
	s_addc_u32 s23, s5, s19
	s_add_u32 s18, s18, 1
	global_load_ubyte v0, v17, s[22:23]
	s_addc_u32 s19, s19, 0
	s_waitcnt vmcnt(0)
	v_and_b32_e32 v16, 0xffff, v0
	v_lshlrev_b64 v[0:1], s16, v[16:17]
	s_add_u32 s16, s16, 8
	s_addc_u32 s17, s17, 0
	s_cmp_lg_u32 s20, s18
	v_or_b32_e32 v28, v0, v28
	v_or_b32_e32 v29, v1, v29
	s_cbranch_scc1 .LBB1_185
.LBB1_186:                              ;   in Loop: Header=BB1_147 Depth=1
	s_mov_b64 s[16:17], s[4:5]
	s_mov_b32 s21, 0
	s_cbranch_execz .LBB1_188
	s_branch .LBB1_189
.LBB1_187:                              ;   in Loop: Header=BB1_147 Depth=1
                                        ; implicit-def: $vgpr28_vgpr29
	s_mov_b32 s21, 0
.LBB1_188:                              ;   in Loop: Header=BB1_147 Depth=1
	global_load_dwordx2 v[28:29], v17, s[4:5]
	s_add_i32 s21, s20, -8
.LBB1_189:                              ;   in Loop: Header=BB1_147 Depth=1
	s_cmp_gt_u32 s21, 7
	s_cbranch_scc1 .LBB1_194
; %bb.190:                              ;   in Loop: Header=BB1_147 Depth=1
	v_mov_b32_e32 v30, 0
	v_mov_b32_e32 v31, 0
	s_cmp_eq_u32 s21, 0
	s_cbranch_scc1 .LBB1_193
; %bb.191:                              ;   in Loop: Header=BB1_147 Depth=1
	s_mov_b64 s[4:5], 0
	s_mov_b64 s[18:19], s[16:17]
.LBB1_192:                              ;   Parent Loop BB1_147 Depth=1
                                        ; =>  This Inner Loop Header: Depth=2
	global_load_ubyte v0, v17, s[18:19]
	s_add_i32 s21, s21, -1
	s_waitcnt vmcnt(0)
	v_and_b32_e32 v16, 0xffff, v0
	v_lshlrev_b64 v[0:1], s4, v[16:17]
	s_add_u32 s4, s4, 8
	s_addc_u32 s5, s5, 0
	s_add_u32 s18, s18, 1
	s_addc_u32 s19, s19, 0
	s_cmp_lg_u32 s21, 0
	v_or_b32_e32 v30, v0, v30
	v_or_b32_e32 v31, v1, v31
	s_cbranch_scc1 .LBB1_192
.LBB1_193:                              ;   in Loop: Header=BB1_147 Depth=1
	s_cbranch_execz .LBB1_195
	s_branch .LBB1_196
.LBB1_194:                              ;   in Loop: Header=BB1_147 Depth=1
.LBB1_195:                              ;   in Loop: Header=BB1_147 Depth=1
	global_load_dwordx2 v[30:31], v17, s[16:17]
.LBB1_196:                              ;   in Loop: Header=BB1_147 Depth=1
	v_readfirstlane_b32 s4, v36
	v_mov_b32_e32 v0, 0
	v_mov_b32_e32 v1, 0
	v_cmp_eq_u32_e64 s4, s4, v36
	s_and_saveexec_b32 s5, s4
	s_cbranch_execz .LBB1_202
; %bb.197:                              ;   in Loop: Header=BB1_147 Depth=1
	global_load_dwordx2 v[34:35], v17, s[6:7] offset:24 glc dlc
	s_waitcnt vmcnt(0)
	buffer_gl1_inv
	buffer_gl0_inv
	s_clause 0x1
	global_load_dwordx2 v[0:1], v17, s[6:7] offset:40
	global_load_dwordx2 v[3:4], v17, s[6:7]
	s_mov_b32 s16, exec_lo
	s_waitcnt vmcnt(1)
	v_and_b32_e32 v1, v1, v35
	v_and_b32_e32 v0, v0, v34
	v_mul_lo_u32 v1, v1, 24
	v_mul_hi_u32 v16, v0, 24
	v_mul_lo_u32 v0, v0, 24
	v_add_nc_u32_e32 v1, v16, v1
	s_waitcnt vmcnt(0)
	v_add_co_u32 v0, vcc_lo, v3, v0
	v_add_co_ci_u32_e64 v1, null, v4, v1, vcc_lo
	global_load_dwordx2 v[32:33], v[0:1], off glc dlc
	s_waitcnt vmcnt(0)
	global_atomic_cmpswap_x2 v[0:1], v17, v[32:35], s[6:7] offset:24 glc
	s_waitcnt vmcnt(0)
	buffer_gl1_inv
	buffer_gl0_inv
	v_cmpx_ne_u64_e64 v[0:1], v[34:35]
	s_cbranch_execz .LBB1_201
; %bb.198:                              ;   in Loop: Header=BB1_147 Depth=1
	s_mov_b32 s17, 0
	.p2align	6
.LBB1_199:                              ;   Parent Loop BB1_147 Depth=1
                                        ; =>  This Inner Loop Header: Depth=2
	s_sleep 1
	s_clause 0x1
	global_load_dwordx2 v[3:4], v17, s[6:7] offset:40
	global_load_dwordx2 v[32:33], v17, s[6:7]
	v_mov_b32_e32 v35, v1
	v_mov_b32_e32 v34, v0
	s_waitcnt vmcnt(1)
	v_and_b32_e32 v0, v3, v34
	v_and_b32_e32 v3, v4, v35
	s_waitcnt vmcnt(0)
	v_mad_u64_u32 v[0:1], null, v0, 24, v[32:33]
	v_mad_u64_u32 v[3:4], null, v3, 24, v[1:2]
	v_mov_b32_e32 v1, v3
	global_load_dwordx2 v[32:33], v[0:1], off glc dlc
	s_waitcnt vmcnt(0)
	global_atomic_cmpswap_x2 v[0:1], v17, v[32:35], s[6:7] offset:24 glc
	s_waitcnt vmcnt(0)
	buffer_gl1_inv
	buffer_gl0_inv
	v_cmp_eq_u64_e32 vcc_lo, v[0:1], v[34:35]
	s_or_b32 s17, vcc_lo, s17
	s_andn2_b32 exec_lo, exec_lo, s17
	s_cbranch_execnz .LBB1_199
; %bb.200:                              ;   in Loop: Header=BB1_147 Depth=1
	s_or_b32 exec_lo, exec_lo, s17
.LBB1_201:                              ;   in Loop: Header=BB1_147 Depth=1
	s_or_b32 exec_lo, exec_lo, s16
.LBB1_202:                              ;   in Loop: Header=BB1_147 Depth=1
	s_or_b32 exec_lo, exec_lo, s5
	s_clause 0x1
	global_load_dwordx2 v[3:4], v17, s[6:7] offset:40
	global_load_dwordx4 v[32:35], v17, s[6:7]
	v_readfirstlane_b32 s17, v1
	v_readfirstlane_b32 s16, v0
	s_mov_b32 s5, exec_lo
	s_waitcnt vmcnt(1)
	v_readfirstlane_b32 s18, v3
	v_readfirstlane_b32 s19, v4
	s_and_b64 s[18:19], s[18:19], s[16:17]
	s_mul_i32 s20, s19, 24
	s_mul_hi_u32 s21, s18, 24
	s_mul_i32 s22, s18, 24
	s_add_i32 s21, s21, s20
	s_waitcnt vmcnt(0)
	v_add_co_u32 v0, vcc_lo, v32, s22
	v_add_co_ci_u32_e64 v1, null, s21, v33, vcc_lo
	s_and_saveexec_b32 s20, s4
	s_cbranch_execz .LBB1_204
; %bb.203:                              ;   in Loop: Header=BB1_147 Depth=1
	v_mov_b32_e32 v16, s5
	global_store_dwordx4 v[0:1], v[16:19], off offset:8
.LBB1_204:                              ;   in Loop: Header=BB1_147 Depth=1
	s_or_b32 exec_lo, exec_lo, s20
	v_cmp_lt_u64_e64 vcc_lo, s[12:13], 57
	s_lshl_b64 s[18:19], s[18:19], 12
	v_and_b32_e32 v4, 0xffffff1f, v12
	s_lshl_b32 s5, s14, 2
	s_add_i32 s5, s5, 28
	v_cndmask_b32_e32 v3, 0, v5, vcc_lo
	v_add_co_u32 v34, vcc_lo, v34, s18
	v_add_co_ci_u32_e64 v35, null, s19, v35, vcc_lo
	v_or_b32_e32 v3, v4, v3
	v_readfirstlane_b32 s18, v34
	v_readfirstlane_b32 s19, v35
	v_and_or_b32 v12, 0x1e0, s5, v3
	global_store_dwordx4 v37, v[20:23], s[18:19] offset:16
	global_store_dwordx4 v37, v[12:15], s[18:19]
	global_store_dwordx4 v37, v[24:27], s[18:19] offset:32
	global_store_dwordx4 v37, v[28:31], s[18:19] offset:48
	s_and_saveexec_b32 s5, s4
	s_cbranch_execz .LBB1_212
; %bb.205:                              ;   in Loop: Header=BB1_147 Depth=1
	s_clause 0x1
	global_load_dwordx2 v[22:23], v17, s[6:7] offset:32 glc dlc
	global_load_dwordx2 v[3:4], v17, s[6:7] offset:40
	v_mov_b32_e32 v20, s16
	v_mov_b32_e32 v21, s17
	s_waitcnt vmcnt(0)
	v_readfirstlane_b32 s18, v3
	v_readfirstlane_b32 s19, v4
	s_and_b64 s[18:19], s[18:19], s[16:17]
	s_mul_i32 s19, s19, 24
	s_mul_hi_u32 s20, s18, 24
	s_mul_i32 s18, s18, 24
	s_add_i32 s20, s20, s19
	v_add_co_u32 v3, vcc_lo, v32, s18
	v_add_co_ci_u32_e64 v4, null, s20, v33, vcc_lo
	s_mov_b32 s18, exec_lo
	global_store_dwordx2 v[3:4], v[22:23], off
	s_waitcnt_vscnt null, 0x0
	global_atomic_cmpswap_x2 v[14:15], v17, v[20:23], s[6:7] offset:32 glc
	s_waitcnt vmcnt(0)
	v_cmpx_ne_u64_e64 v[14:15], v[22:23]
	s_cbranch_execz .LBB1_208
; %bb.206:                              ;   in Loop: Header=BB1_147 Depth=1
	s_mov_b32 s19, 0
.LBB1_207:                              ;   Parent Loop BB1_147 Depth=1
                                        ; =>  This Inner Loop Header: Depth=2
	v_mov_b32_e32 v12, s16
	v_mov_b32_e32 v13, s17
	s_sleep 1
	global_store_dwordx2 v[3:4], v[14:15], off
	s_waitcnt_vscnt null, 0x0
	global_atomic_cmpswap_x2 v[12:13], v17, v[12:15], s[6:7] offset:32 glc
	s_waitcnt vmcnt(0)
	v_cmp_eq_u64_e32 vcc_lo, v[12:13], v[14:15]
	v_mov_b32_e32 v15, v13
	v_mov_b32_e32 v14, v12
	s_or_b32 s19, vcc_lo, s19
	s_andn2_b32 exec_lo, exec_lo, s19
	s_cbranch_execnz .LBB1_207
.LBB1_208:                              ;   in Loop: Header=BB1_147 Depth=1
	s_or_b32 exec_lo, exec_lo, s18
	global_load_dwordx2 v[3:4], v17, s[6:7] offset:16
	s_mov_b32 s19, exec_lo
	s_mov_b32 s18, exec_lo
	v_mbcnt_lo_u32_b32 v12, s19, 0
	v_cmpx_eq_u32_e32 0, v12
	s_cbranch_execz .LBB1_210
; %bb.209:                              ;   in Loop: Header=BB1_147 Depth=1
	s_bcnt1_i32_b32 s19, s19
	v_mov_b32_e32 v16, s19
	s_waitcnt vmcnt(0)
	global_atomic_add_x2 v[3:4], v[16:17], off offset:8
.LBB1_210:                              ;   in Loop: Header=BB1_147 Depth=1
	s_or_b32 exec_lo, exec_lo, s18
	s_waitcnt vmcnt(0)
	global_load_dwordx2 v[12:13], v[3:4], off offset:16
	s_waitcnt vmcnt(0)
	v_cmp_eq_u64_e32 vcc_lo, 0, v[12:13]
	s_cbranch_vccnz .LBB1_212
; %bb.211:                              ;   in Loop: Header=BB1_147 Depth=1
	global_load_dword v16, v[3:4], off offset:24
	s_waitcnt vmcnt(0)
	v_readfirstlane_b32 s18, v16
	s_waitcnt_vscnt null, 0x0
	global_store_dwordx2 v[12:13], v[16:17], off
	s_and_b32 m0, s18, 0x7fffff
	s_sendmsg sendmsg(MSG_INTERRUPT)
.LBB1_212:                              ;   in Loop: Header=BB1_147 Depth=1
	s_or_b32 exec_lo, exec_lo, s5
	v_add_co_u32 v3, vcc_lo, v34, v37
	v_add_co_ci_u32_e64 v4, null, 0, v35, vcc_lo
	s_branch .LBB1_216
	.p2align	6
.LBB1_213:                              ;   in Loop: Header=BB1_216 Depth=2
	s_or_b32 exec_lo, exec_lo, s5
	v_readfirstlane_b32 s5, v12
	s_cmp_eq_u32 s5, 0
	s_cbranch_scc1 .LBB1_215
; %bb.214:                              ;   in Loop: Header=BB1_216 Depth=2
	s_sleep 1
	s_cbranch_execnz .LBB1_216
	s_branch .LBB1_218
	.p2align	6
.LBB1_215:                              ;   in Loop: Header=BB1_147 Depth=1
	s_branch .LBB1_218
.LBB1_216:                              ;   Parent Loop BB1_147 Depth=1
                                        ; =>  This Inner Loop Header: Depth=2
	v_mov_b32_e32 v12, 1
	s_and_saveexec_b32 s5, s4
	s_cbranch_execz .LBB1_213
; %bb.217:                              ;   in Loop: Header=BB1_216 Depth=2
	global_load_dword v12, v[0:1], off offset:20 glc dlc
	s_waitcnt vmcnt(0)
	buffer_gl1_inv
	buffer_gl0_inv
	v_and_b32_e32 v12, 1, v12
	s_branch .LBB1_213
.LBB1_218:                              ;   in Loop: Header=BB1_147 Depth=1
	global_load_dwordx2 v[12:13], v[3:4], off
	s_and_saveexec_b32 s18, s4
	s_cbranch_execz .LBB1_146
; %bb.219:                              ;   in Loop: Header=BB1_147 Depth=1
	s_clause 0x2
	global_load_dwordx2 v[0:1], v17, s[6:7] offset:40
	global_load_dwordx2 v[24:25], v17, s[6:7] offset:24 glc dlc
	global_load_dwordx2 v[3:4], v17, s[6:7]
	s_waitcnt vmcnt(2)
	v_readfirstlane_b32 s20, v0
	v_readfirstlane_b32 s21, v1
	s_add_u32 s19, s20, 1
	s_addc_u32 s22, s21, 0
	s_add_u32 s4, s19, s16
	s_addc_u32 s5, s22, s17
	s_cmp_eq_u64 s[4:5], 0
	s_cselect_b32 s5, s22, s5
	s_cselect_b32 s4, s19, s4
	v_mov_b32_e32 v23, s5
	s_and_b64 s[16:17], s[4:5], s[20:21]
	v_mov_b32_e32 v22, s4
	s_mul_i32 s17, s17, 24
	s_mul_hi_u32 s19, s16, 24
	s_mul_i32 s16, s16, 24
	s_add_i32 s19, s19, s17
	s_waitcnt vmcnt(0)
	v_add_co_u32 v0, vcc_lo, v3, s16
	v_add_co_ci_u32_e64 v1, null, s19, v4, vcc_lo
	global_store_dwordx2 v[0:1], v[24:25], off
	s_waitcnt_vscnt null, 0x0
	global_atomic_cmpswap_x2 v[22:23], v17, v[22:25], s[6:7] offset:24 glc
	s_waitcnt vmcnt(0)
	v_cmp_ne_u64_e32 vcc_lo, v[22:23], v[24:25]
	s_and_b32 exec_lo, exec_lo, vcc_lo
	s_cbranch_execz .LBB1_146
; %bb.220:                              ;   in Loop: Header=BB1_147 Depth=1
	s_mov_b32 s16, 0
.LBB1_221:                              ;   Parent Loop BB1_147 Depth=1
                                        ; =>  This Inner Loop Header: Depth=2
	v_mov_b32_e32 v20, s4
	v_mov_b32_e32 v21, s5
	s_sleep 1
	global_store_dwordx2 v[0:1], v[22:23], off
	s_waitcnt_vscnt null, 0x0
	global_atomic_cmpswap_x2 v[3:4], v17, v[20:23], s[6:7] offset:24 glc
	s_waitcnt vmcnt(0)
	v_cmp_eq_u64_e32 vcc_lo, v[3:4], v[22:23]
	v_mov_b32_e32 v23, v4
	v_mov_b32_e32 v22, v3
	s_or_b32 s16, vcc_lo, s16
	s_andn2_b32 exec_lo, exec_lo, s16
	s_cbranch_execnz .LBB1_221
	s_branch .LBB1_146
.LBB1_222:
                                        ; implicit-def: $vgpr12_vgpr13
	s_cbranch_execnz .LBB1_224
	s_branch .LBB1_251
.LBB1_223:
	s_branch .LBB1_251
.LBB1_224:
	v_readfirstlane_b32 s4, v36
	v_mov_b32_e32 v0, 0
	v_mov_b32_e32 v1, 0
	v_cmp_eq_u32_e64 s4, s4, v36
	s_and_saveexec_b32 s5, s4
	s_cbranch_execz .LBB1_230
; %bb.225:
	v_mov_b32_e32 v3, 0
	s_mov_b32 s10, exec_lo
	global_load_dwordx2 v[14:15], v3, s[6:7] offset:24 glc dlc
	s_waitcnt vmcnt(0)
	buffer_gl1_inv
	buffer_gl0_inv
	s_clause 0x1
	global_load_dwordx2 v[0:1], v3, s[6:7] offset:40
	global_load_dwordx2 v[4:5], v3, s[6:7]
	s_waitcnt vmcnt(1)
	v_and_b32_e32 v1, v1, v15
	v_and_b32_e32 v0, v0, v14
	v_mul_lo_u32 v1, v1, 24
	v_mul_hi_u32 v12, v0, 24
	v_mul_lo_u32 v0, v0, 24
	v_add_nc_u32_e32 v1, v12, v1
	s_waitcnt vmcnt(0)
	v_add_co_u32 v0, vcc_lo, v4, v0
	v_add_co_ci_u32_e64 v1, null, v5, v1, vcc_lo
	global_load_dwordx2 v[12:13], v[0:1], off glc dlc
	s_waitcnt vmcnt(0)
	global_atomic_cmpswap_x2 v[0:1], v3, v[12:15], s[6:7] offset:24 glc
	s_waitcnt vmcnt(0)
	buffer_gl1_inv
	buffer_gl0_inv
	v_cmpx_ne_u64_e64 v[0:1], v[14:15]
	s_cbranch_execz .LBB1_229
; %bb.226:
	s_mov_b32 s11, 0
	.p2align	6
.LBB1_227:                              ; =>This Inner Loop Header: Depth=1
	s_sleep 1
	s_clause 0x1
	global_load_dwordx2 v[4:5], v3, s[6:7] offset:40
	global_load_dwordx2 v[12:13], v3, s[6:7]
	v_mov_b32_e32 v15, v1
	v_mov_b32_e32 v14, v0
	s_waitcnt vmcnt(1)
	v_and_b32_e32 v0, v4, v14
	v_and_b32_e32 v4, v5, v15
	s_waitcnt vmcnt(0)
	v_mad_u64_u32 v[0:1], null, v0, 24, v[12:13]
	v_mad_u64_u32 v[4:5], null, v4, 24, v[1:2]
	v_mov_b32_e32 v1, v4
	global_load_dwordx2 v[12:13], v[0:1], off glc dlc
	s_waitcnt vmcnt(0)
	global_atomic_cmpswap_x2 v[0:1], v3, v[12:15], s[6:7] offset:24 glc
	s_waitcnt vmcnt(0)
	buffer_gl1_inv
	buffer_gl0_inv
	v_cmp_eq_u64_e32 vcc_lo, v[0:1], v[14:15]
	s_or_b32 s11, vcc_lo, s11
	s_andn2_b32 exec_lo, exec_lo, s11
	s_cbranch_execnz .LBB1_227
; %bb.228:
	s_or_b32 exec_lo, exec_lo, s11
.LBB1_229:
	s_or_b32 exec_lo, exec_lo, s10
.LBB1_230:
	s_or_b32 exec_lo, exec_lo, s5
	s_waitcnt vmcnt(0)
	v_mov_b32_e32 v12, 0
	v_readfirstlane_b32 s11, v1
	v_readfirstlane_b32 s10, v0
	s_mov_b32 s5, exec_lo
	s_clause 0x1
	global_load_dwordx2 v[3:4], v12, s[6:7] offset:40
	global_load_dwordx4 v[14:17], v12, s[6:7]
	s_waitcnt vmcnt(1)
	v_readfirstlane_b32 s12, v3
	v_readfirstlane_b32 s13, v4
	s_and_b64 s[12:13], s[12:13], s[10:11]
	s_mul_i32 s14, s13, 24
	s_mul_hi_u32 s15, s12, 24
	s_mul_i32 s16, s12, 24
	s_add_i32 s15, s15, s14
	s_waitcnt vmcnt(0)
	v_add_co_u32 v0, vcc_lo, v14, s16
	v_add_co_ci_u32_e64 v1, null, s15, v15, vcc_lo
	s_and_saveexec_b32 s14, s4
	s_cbranch_execz .LBB1_232
; %bb.231:
	v_mov_b32_e32 v18, s5
	v_mov_b32_e32 v19, v12
	v_mov_b32_e32 v20, 2
	v_mov_b32_e32 v21, 1
	global_store_dwordx4 v[0:1], v[18:21], off offset:8
.LBB1_232:
	s_or_b32 exec_lo, exec_lo, s14
	s_lshl_b64 s[12:13], s[12:13], 12
	v_and_or_b32 v10, 0xffffff1f, v10, 32
	v_add_co_u32 v3, vcc_lo, v16, s12
	v_add_co_ci_u32_e64 v4, null, s13, v17, vcc_lo
	s_mov_b32 s12, 0
	v_readfirstlane_b32 s16, v3
	s_mov_b32 s15, s12
	v_add_co_u32 v3, vcc_lo, v3, v37
	s_mov_b32 s13, s12
	s_mov_b32 s14, s12
	v_mov_b32_e32 v13, v12
	v_readfirstlane_b32 s17, v4
	v_mov_b32_e32 v19, s15
	v_add_co_ci_u32_e64 v4, null, 0, v4, vcc_lo
	v_mov_b32_e32 v18, s14
	v_mov_b32_e32 v17, s13
	;; [unrolled: 1-line block ×3, first 2 shown]
	global_store_dwordx4 v37, v[10:13], s[16:17]
	global_store_dwordx4 v37, v[16:19], s[16:17] offset:16
	global_store_dwordx4 v37, v[16:19], s[16:17] offset:32
	;; [unrolled: 1-line block ×3, first 2 shown]
	s_and_saveexec_b32 s5, s4
	s_cbranch_execz .LBB1_240
; %bb.233:
	v_mov_b32_e32 v5, 0
	v_mov_b32_e32 v16, s10
	;; [unrolled: 1-line block ×3, first 2 shown]
	s_clause 0x1
	global_load_dwordx2 v[18:19], v5, s[6:7] offset:32 glc dlc
	global_load_dwordx2 v[10:11], v5, s[6:7] offset:40
	s_waitcnt vmcnt(0)
	v_readfirstlane_b32 s12, v10
	v_readfirstlane_b32 s13, v11
	s_and_b64 s[12:13], s[12:13], s[10:11]
	s_mul_i32 s13, s13, 24
	s_mul_hi_u32 s14, s12, 24
	s_mul_i32 s12, s12, 24
	s_add_i32 s14, s14, s13
	v_add_co_u32 v14, vcc_lo, v14, s12
	v_add_co_ci_u32_e64 v15, null, s14, v15, vcc_lo
	s_mov_b32 s12, exec_lo
	global_store_dwordx2 v[14:15], v[18:19], off
	s_waitcnt_vscnt null, 0x0
	global_atomic_cmpswap_x2 v[12:13], v5, v[16:19], s[6:7] offset:32 glc
	s_waitcnt vmcnt(0)
	v_cmpx_ne_u64_e64 v[12:13], v[18:19]
	s_cbranch_execz .LBB1_236
; %bb.234:
	s_mov_b32 s13, 0
.LBB1_235:                              ; =>This Inner Loop Header: Depth=1
	v_mov_b32_e32 v10, s10
	v_mov_b32_e32 v11, s11
	s_sleep 1
	global_store_dwordx2 v[14:15], v[12:13], off
	s_waitcnt_vscnt null, 0x0
	global_atomic_cmpswap_x2 v[10:11], v5, v[10:13], s[6:7] offset:32 glc
	s_waitcnt vmcnt(0)
	v_cmp_eq_u64_e32 vcc_lo, v[10:11], v[12:13]
	v_mov_b32_e32 v13, v11
	v_mov_b32_e32 v12, v10
	s_or_b32 s13, vcc_lo, s13
	s_andn2_b32 exec_lo, exec_lo, s13
	s_cbranch_execnz .LBB1_235
.LBB1_236:
	s_or_b32 exec_lo, exec_lo, s12
	v_mov_b32_e32 v13, 0
	s_mov_b32 s13, exec_lo
	s_mov_b32 s12, exec_lo
	v_mbcnt_lo_u32_b32 v5, s13, 0
	global_load_dwordx2 v[10:11], v13, s[6:7] offset:16
	v_cmpx_eq_u32_e32 0, v5
	s_cbranch_execz .LBB1_238
; %bb.237:
	s_bcnt1_i32_b32 s13, s13
	v_mov_b32_e32 v12, s13
	s_waitcnt vmcnt(0)
	global_atomic_add_x2 v[10:11], v[12:13], off offset:8
.LBB1_238:
	s_or_b32 exec_lo, exec_lo, s12
	s_waitcnt vmcnt(0)
	global_load_dwordx2 v[12:13], v[10:11], off offset:16
	s_waitcnt vmcnt(0)
	v_cmp_eq_u64_e32 vcc_lo, 0, v[12:13]
	s_cbranch_vccnz .LBB1_240
; %bb.239:
	global_load_dword v10, v[10:11], off offset:24
	v_mov_b32_e32 v11, 0
	s_waitcnt vmcnt(0)
	v_readfirstlane_b32 s12, v10
	s_waitcnt_vscnt null, 0x0
	global_store_dwordx2 v[12:13], v[10:11], off
	s_and_b32 m0, s12, 0x7fffff
	s_sendmsg sendmsg(MSG_INTERRUPT)
.LBB1_240:
	s_or_b32 exec_lo, exec_lo, s5
	s_branch .LBB1_244
	.p2align	6
.LBB1_241:                              ;   in Loop: Header=BB1_244 Depth=1
	s_or_b32 exec_lo, exec_lo, s5
	v_readfirstlane_b32 s5, v5
	s_cmp_eq_u32 s5, 0
	s_cbranch_scc1 .LBB1_243
; %bb.242:                              ;   in Loop: Header=BB1_244 Depth=1
	s_sleep 1
	s_cbranch_execnz .LBB1_244
	s_branch .LBB1_246
	.p2align	6
.LBB1_243:
	s_branch .LBB1_246
.LBB1_244:                              ; =>This Inner Loop Header: Depth=1
	v_mov_b32_e32 v5, 1
	s_and_saveexec_b32 s5, s4
	s_cbranch_execz .LBB1_241
; %bb.245:                              ;   in Loop: Header=BB1_244 Depth=1
	global_load_dword v5, v[0:1], off offset:20 glc dlc
	s_waitcnt vmcnt(0)
	buffer_gl1_inv
	buffer_gl0_inv
	v_and_b32_e32 v5, 1, v5
	s_branch .LBB1_241
.LBB1_246:
	global_load_dwordx2 v[12:13], v[3:4], off
	s_and_saveexec_b32 s12, s4
	s_cbranch_execz .LBB1_250
; %bb.247:
	v_mov_b32_e32 v3, 0
	s_clause 0x2
	global_load_dwordx2 v[0:1], v3, s[6:7] offset:40
	global_load_dwordx2 v[18:19], v3, s[6:7] offset:24 glc dlc
	global_load_dwordx2 v[4:5], v3, s[6:7]
	s_waitcnt vmcnt(2)
	v_readfirstlane_b32 s14, v0
	v_readfirstlane_b32 s15, v1
	s_add_u32 s13, s14, 1
	s_addc_u32 s16, s15, 0
	s_add_u32 s4, s13, s10
	s_addc_u32 s5, s16, s11
	s_cmp_eq_u64 s[4:5], 0
	s_cselect_b32 s5, s16, s5
	s_cselect_b32 s4, s13, s4
	v_mov_b32_e32 v17, s5
	s_and_b64 s[10:11], s[4:5], s[14:15]
	v_mov_b32_e32 v16, s4
	s_mul_i32 s11, s11, 24
	s_mul_hi_u32 s13, s10, 24
	s_mul_i32 s10, s10, 24
	s_add_i32 s13, s13, s11
	s_waitcnt vmcnt(0)
	v_add_co_u32 v0, vcc_lo, v4, s10
	v_add_co_ci_u32_e64 v1, null, s13, v5, vcc_lo
	global_store_dwordx2 v[0:1], v[18:19], off
	s_waitcnt_vscnt null, 0x0
	global_atomic_cmpswap_x2 v[16:17], v3, v[16:19], s[6:7] offset:24 glc
	s_waitcnt vmcnt(0)
	v_cmp_ne_u64_e32 vcc_lo, v[16:17], v[18:19]
	s_and_b32 exec_lo, exec_lo, vcc_lo
	s_cbranch_execz .LBB1_250
; %bb.248:
	s_mov_b32 s10, 0
.LBB1_249:                              ; =>This Inner Loop Header: Depth=1
	v_mov_b32_e32 v14, s4
	v_mov_b32_e32 v15, s5
	s_sleep 1
	global_store_dwordx2 v[0:1], v[16:17], off
	s_waitcnt_vscnt null, 0x0
	global_atomic_cmpswap_x2 v[4:5], v3, v[14:17], s[6:7] offset:24 glc
	s_waitcnt vmcnt(0)
	v_cmp_eq_u64_e32 vcc_lo, v[4:5], v[16:17]
	v_mov_b32_e32 v17, v5
	v_mov_b32_e32 v16, v4
	s_or_b32 s10, vcc_lo, s10
	s_andn2_b32 exec_lo, exec_lo, s10
	s_cbranch_execnz .LBB1_249
.LBB1_250:
	s_or_b32 exec_lo, exec_lo, s12
.LBB1_251:
	v_readfirstlane_b32 s4, v36
	v_mov_b32_e32 v0, 0
	v_mov_b32_e32 v1, 0
	v_cmp_eq_u32_e64 s4, s4, v36
	s_and_saveexec_b32 s5, s4
	s_cbranch_execz .LBB1_257
; %bb.252:
	v_mov_b32_e32 v3, 0
	s_mov_b32 s10, exec_lo
	global_load_dwordx2 v[16:17], v3, s[6:7] offset:24 glc dlc
	s_waitcnt vmcnt(0)
	buffer_gl1_inv
	buffer_gl0_inv
	s_clause 0x1
	global_load_dwordx2 v[0:1], v3, s[6:7] offset:40
	global_load_dwordx2 v[4:5], v3, s[6:7]
	s_waitcnt vmcnt(1)
	v_and_b32_e32 v1, v1, v17
	v_and_b32_e32 v0, v0, v16
	v_mul_lo_u32 v1, v1, 24
	v_mul_hi_u32 v10, v0, 24
	v_mul_lo_u32 v0, v0, 24
	v_add_nc_u32_e32 v1, v10, v1
	s_waitcnt vmcnt(0)
	v_add_co_u32 v0, vcc_lo, v4, v0
	v_add_co_ci_u32_e64 v1, null, v5, v1, vcc_lo
	global_load_dwordx2 v[14:15], v[0:1], off glc dlc
	s_waitcnt vmcnt(0)
	global_atomic_cmpswap_x2 v[0:1], v3, v[14:17], s[6:7] offset:24 glc
	s_waitcnt vmcnt(0)
	buffer_gl1_inv
	buffer_gl0_inv
	v_cmpx_ne_u64_e64 v[0:1], v[16:17]
	s_cbranch_execz .LBB1_256
; %bb.253:
	s_mov_b32 s11, 0
	.p2align	6
.LBB1_254:                              ; =>This Inner Loop Header: Depth=1
	s_sleep 1
	s_clause 0x1
	global_load_dwordx2 v[4:5], v3, s[6:7] offset:40
	global_load_dwordx2 v[10:11], v3, s[6:7]
	v_mov_b32_e32 v17, v1
	v_mov_b32_e32 v16, v0
	s_waitcnt vmcnt(1)
	v_and_b32_e32 v0, v4, v16
	v_and_b32_e32 v4, v5, v17
	s_waitcnt vmcnt(0)
	v_mad_u64_u32 v[0:1], null, v0, 24, v[10:11]
	v_mad_u64_u32 v[4:5], null, v4, 24, v[1:2]
	v_mov_b32_e32 v1, v4
	global_load_dwordx2 v[14:15], v[0:1], off glc dlc
	s_waitcnt vmcnt(0)
	global_atomic_cmpswap_x2 v[0:1], v3, v[14:17], s[6:7] offset:24 glc
	s_waitcnt vmcnt(0)
	buffer_gl1_inv
	buffer_gl0_inv
	v_cmp_eq_u64_e32 vcc_lo, v[0:1], v[16:17]
	s_or_b32 s11, vcc_lo, s11
	s_andn2_b32 exec_lo, exec_lo, s11
	s_cbranch_execnz .LBB1_254
; %bb.255:
	s_or_b32 exec_lo, exec_lo, s11
.LBB1_256:
	s_or_b32 exec_lo, exec_lo, s10
.LBB1_257:
	s_or_b32 exec_lo, exec_lo, s5
	v_mov_b32_e32 v15, 0
	v_readfirstlane_b32 s11, v1
	v_readfirstlane_b32 s10, v0
	s_mov_b32 s5, exec_lo
	s_clause 0x1
	global_load_dwordx2 v[3:4], v15, s[6:7] offset:40
	global_load_dwordx4 v[16:19], v15, s[6:7]
	s_waitcnt vmcnt(1)
	v_readfirstlane_b32 s12, v3
	v_readfirstlane_b32 s13, v4
	s_and_b64 s[12:13], s[12:13], s[10:11]
	s_mul_i32 s14, s13, 24
	s_mul_hi_u32 s15, s12, 24
	s_mul_i32 s16, s12, 24
	s_add_i32 s15, s15, s14
	s_waitcnt vmcnt(0)
	v_add_co_u32 v4, vcc_lo, v16, s16
	v_add_co_ci_u32_e64 v5, null, s15, v17, vcc_lo
	s_and_saveexec_b32 s14, s4
	s_cbranch_execz .LBB1_259
; %bb.258:
	v_mov_b32_e32 v14, s5
	v_mov_b32_e32 v21, v15
	;; [unrolled: 1-line block ×5, first 2 shown]
	global_store_dwordx4 v[4:5], v[20:23], off offset:8
.LBB1_259:
	s_or_b32 exec_lo, exec_lo, s14
	s_lshl_b64 s[12:13], s[12:13], 12
	v_and_or_b32 v12, 0xffffff1f, v12, 32
	v_add_co_u32 v10, vcc_lo, v18, s12
	v_add_co_ci_u32_e64 v11, null, s13, v19, vcc_lo
	s_mov_b32 s12, 0
	v_readfirstlane_b32 s16, v10
	v_add_co_u32 v10, vcc_lo, v10, v37
	s_mov_b32 s13, s12
	s_mov_b32 s14, s12
	;; [unrolled: 1-line block ×3, first 2 shown]
	v_mov_b32_e32 v14, v2
	v_readfirstlane_b32 s17, v11
	v_mov_b32_e32 v0, s12
	v_add_co_ci_u32_e64 v11, null, 0, v11, vcc_lo
	v_mov_b32_e32 v1, s13
	v_mov_b32_e32 v2, s14
	;; [unrolled: 1-line block ×3, first 2 shown]
	global_store_dwordx4 v37, v[12:15], s[16:17]
	global_store_dwordx4 v37, v[0:3], s[16:17] offset:16
	global_store_dwordx4 v37, v[0:3], s[16:17] offset:32
	;; [unrolled: 1-line block ×3, first 2 shown]
	s_and_saveexec_b32 s5, s4
	s_cbranch_execz .LBB1_267
; %bb.260:
	v_mov_b32_e32 v14, 0
	s_clause 0x1
	global_load_dwordx2 v[18:19], v14, s[6:7] offset:32 glc dlc
	global_load_dwordx2 v[0:1], v14, s[6:7] offset:40
	s_waitcnt vmcnt(0)
	v_readfirstlane_b32 s12, v0
	v_readfirstlane_b32 s13, v1
	s_and_b64 s[12:13], s[12:13], s[10:11]
	s_mul_i32 s13, s13, 24
	s_mul_hi_u32 s14, s12, 24
	s_mul_i32 s12, s12, 24
	s_add_i32 s14, s14, s13
	v_add_co_u32 v12, vcc_lo, v16, s12
	v_add_co_ci_u32_e64 v13, null, s14, v17, vcc_lo
	v_mov_b32_e32 v16, s10
	v_mov_b32_e32 v17, s11
	s_mov_b32 s12, exec_lo
	global_store_dwordx2 v[12:13], v[18:19], off
	s_waitcnt_vscnt null, 0x0
	global_atomic_cmpswap_x2 v[2:3], v14, v[16:19], s[6:7] offset:32 glc
	s_waitcnt vmcnt(0)
	v_cmpx_ne_u64_e64 v[2:3], v[18:19]
	s_cbranch_execz .LBB1_263
; %bb.261:
	s_mov_b32 s13, 0
.LBB1_262:                              ; =>This Inner Loop Header: Depth=1
	v_mov_b32_e32 v0, s10
	v_mov_b32_e32 v1, s11
	s_sleep 1
	global_store_dwordx2 v[12:13], v[2:3], off
	s_waitcnt_vscnt null, 0x0
	global_atomic_cmpswap_x2 v[0:1], v14, v[0:3], s[6:7] offset:32 glc
	s_waitcnt vmcnt(0)
	v_cmp_eq_u64_e32 vcc_lo, v[0:1], v[2:3]
	v_mov_b32_e32 v3, v1
	v_mov_b32_e32 v2, v0
	s_or_b32 s13, vcc_lo, s13
	s_andn2_b32 exec_lo, exec_lo, s13
	s_cbranch_execnz .LBB1_262
.LBB1_263:
	s_or_b32 exec_lo, exec_lo, s12
	v_mov_b32_e32 v3, 0
	s_mov_b32 s13, exec_lo
	s_mov_b32 s12, exec_lo
	v_mbcnt_lo_u32_b32 v2, s13, 0
	global_load_dwordx2 v[0:1], v3, s[6:7] offset:16
	v_cmpx_eq_u32_e32 0, v2
	s_cbranch_execz .LBB1_265
; %bb.264:
	s_bcnt1_i32_b32 s13, s13
	v_mov_b32_e32 v2, s13
	s_waitcnt vmcnt(0)
	global_atomic_add_x2 v[0:1], v[2:3], off offset:8
.LBB1_265:
	s_or_b32 exec_lo, exec_lo, s12
	s_waitcnt vmcnt(0)
	global_load_dwordx2 v[2:3], v[0:1], off offset:16
	s_waitcnt vmcnt(0)
	v_cmp_eq_u64_e32 vcc_lo, 0, v[2:3]
	s_cbranch_vccnz .LBB1_267
; %bb.266:
	global_load_dword v0, v[0:1], off offset:24
	v_mov_b32_e32 v1, 0
	s_waitcnt vmcnt(0)
	v_readfirstlane_b32 s12, v0
	s_waitcnt_vscnt null, 0x0
	global_store_dwordx2 v[2:3], v[0:1], off
	s_and_b32 m0, s12, 0x7fffff
	s_sendmsg sendmsg(MSG_INTERRUPT)
.LBB1_267:
	s_or_b32 exec_lo, exec_lo, s5
	s_branch .LBB1_271
	.p2align	6
.LBB1_268:                              ;   in Loop: Header=BB1_271 Depth=1
	s_or_b32 exec_lo, exec_lo, s5
	v_readfirstlane_b32 s5, v0
	s_cmp_eq_u32 s5, 0
	s_cbranch_scc1 .LBB1_270
; %bb.269:                              ;   in Loop: Header=BB1_271 Depth=1
	s_sleep 1
	s_cbranch_execnz .LBB1_271
	s_branch .LBB1_273
	.p2align	6
.LBB1_270:
	s_branch .LBB1_273
.LBB1_271:                              ; =>This Inner Loop Header: Depth=1
	v_mov_b32_e32 v0, 1
	s_and_saveexec_b32 s5, s4
	s_cbranch_execz .LBB1_268
; %bb.272:                              ;   in Loop: Header=BB1_271 Depth=1
	global_load_dword v0, v[4:5], off offset:20 glc dlc
	s_waitcnt vmcnt(0)
	buffer_gl1_inv
	buffer_gl0_inv
	v_and_b32_e32 v0, 1, v0
	s_branch .LBB1_268
.LBB1_273:
	global_load_dwordx2 v[0:1], v[10:11], off
	s_and_saveexec_b32 s12, s4
	s_cbranch_execz .LBB1_277
; %bb.274:
	v_mov_b32_e32 v12, 0
	s_clause 0x2
	global_load_dwordx2 v[2:3], v12, s[6:7] offset:40
	global_load_dwordx2 v[15:16], v12, s[6:7] offset:24 glc dlc
	global_load_dwordx2 v[4:5], v12, s[6:7]
	s_waitcnt vmcnt(2)
	v_readfirstlane_b32 s14, v2
	v_readfirstlane_b32 s15, v3
	s_add_u32 s13, s14, 1
	s_addc_u32 s16, s15, 0
	s_add_u32 s4, s13, s10
	s_addc_u32 s5, s16, s11
	s_cmp_eq_u64 s[4:5], 0
	s_cselect_b32 s5, s16, s5
	s_cselect_b32 s4, s13, s4
	v_mov_b32_e32 v14, s5
	s_and_b64 s[10:11], s[4:5], s[14:15]
	v_mov_b32_e32 v13, s4
	s_mul_i32 s11, s11, 24
	s_mul_hi_u32 s13, s10, 24
	s_mul_i32 s10, s10, 24
	s_add_i32 s13, s13, s11
	s_waitcnt vmcnt(0)
	v_add_co_u32 v10, vcc_lo, v4, s10
	v_add_co_ci_u32_e64 v11, null, s13, v5, vcc_lo
	global_store_dwordx2 v[10:11], v[15:16], off
	s_waitcnt_vscnt null, 0x0
	global_atomic_cmpswap_x2 v[4:5], v12, v[13:16], s[6:7] offset:24 glc
	s_waitcnt vmcnt(0)
	v_cmp_ne_u64_e32 vcc_lo, v[4:5], v[15:16]
	s_and_b32 exec_lo, exec_lo, vcc_lo
	s_cbranch_execz .LBB1_277
; %bb.275:
	s_mov_b32 s10, 0
.LBB1_276:                              ; =>This Inner Loop Header: Depth=1
	v_mov_b32_e32 v2, s4
	v_mov_b32_e32 v3, s5
	s_sleep 1
	global_store_dwordx2 v[10:11], v[4:5], off
	s_waitcnt_vscnt null, 0x0
	global_atomic_cmpswap_x2 v[2:3], v12, v[2:5], s[6:7] offset:24 glc
	s_waitcnt vmcnt(0)
	v_cmp_eq_u64_e32 vcc_lo, v[2:3], v[4:5]
	v_mov_b32_e32 v5, v3
	v_mov_b32_e32 v4, v2
	s_or_b32 s10, vcc_lo, s10
	s_andn2_b32 exec_lo, exec_lo, s10
	s_cbranch_execnz .LBB1_276
.LBB1_277:
	s_or_b32 exec_lo, exec_lo, s12
	v_mov_b32_e32 v3, v6
	v_mov_b32_e32 v4, v7
	s_mov_b32 s4, 0
.LBB1_278:                              ; =>This Inner Loop Header: Depth=1
	global_load_ubyte v5, v[3:4], off
	v_add_co_u32 v2, vcc_lo, v3, 1
	v_add_co_ci_u32_e64 v3, null, 0, v4, vcc_lo
	v_mov_b32_e32 v4, v3
	v_mov_b32_e32 v3, v2
	s_waitcnt vmcnt(0)
	v_cmp_eq_u16_e32 vcc_lo, 0, v5
	s_or_b32 s4, vcc_lo, s4
	s_andn2_b32 exec_lo, exec_lo, s4
	s_cbranch_execnz .LBB1_278
; %bb.279:
	s_or_b32 exec_lo, exec_lo, s4
	s_mov_b32 s4, exec_lo
	v_cmpx_ne_u64_e32 0, v[6:7]
	s_xor_b32 s14, exec_lo, s4
	s_cbranch_execz .LBB1_365
; %bb.280:
	v_sub_nc_u32_e32 v30, v2, v6
	v_and_b32_e32 v34, 2, v0
	v_mov_b32_e32 v11, 0
	v_and_b32_e32 v0, -3, v0
	v_mov_b32_e32 v12, 2
	v_ashrrev_i32_e32 v31, 31, v30
	v_mov_b32_e32 v13, 1
	s_mov_b32 s16, 0
	s_mov_b32 s15, 0
	s_branch .LBB1_282
.LBB1_281:                              ;   in Loop: Header=BB1_282 Depth=1
	s_or_b32 exec_lo, exec_lo, s12
	v_sub_co_u32 v30, vcc_lo, v30, v32
	v_sub_co_ci_u32_e64 v31, null, v31, v33, vcc_lo
	v_add_co_u32 v6, s4, v6, v32
	v_add_co_ci_u32_e64 v7, null, v7, v33, s4
	v_cmp_eq_u64_e32 vcc_lo, 0, v[30:31]
	s_or_b32 s15, vcc_lo, s15
	s_andn2_b32 exec_lo, exec_lo, s15
	s_cbranch_execz .LBB1_364
.LBB1_282:                              ; =>This Loop Header: Depth=1
                                        ;     Child Loop BB1_285 Depth 2
                                        ;     Child Loop BB1_293 Depth 2
	;; [unrolled: 1-line block ×11, first 2 shown]
	v_cmp_gt_u64_e32 vcc_lo, 56, v[30:31]
	s_mov_b32 s5, exec_lo
	v_cndmask_b32_e32 v33, 0, v31, vcc_lo
	v_cndmask_b32_e32 v32, 56, v30, vcc_lo
	v_add_co_u32 v16, vcc_lo, v6, 8
	v_add_co_ci_u32_e64 v17, null, 0, v7, vcc_lo
	v_cmpx_gt_u64_e32 8, v[30:31]
	s_xor_b32 s5, exec_lo, s5
	s_cbranch_execz .LBB1_288
; %bb.283:                              ;   in Loop: Header=BB1_282 Depth=1
	v_mov_b32_e32 v2, 0
	v_mov_b32_e32 v3, 0
	s_mov_b32 s12, exec_lo
	v_cmpx_ne_u64_e32 0, v[30:31]
	s_cbranch_execz .LBB1_287
; %bb.284:                              ;   in Loop: Header=BB1_282 Depth=1
	v_lshlrev_b64 v[4:5], 3, v[32:33]
	v_mov_b32_e32 v2, 0
	v_mov_b32_e32 v15, v7
	;; [unrolled: 1-line block ×4, first 2 shown]
	s_mov_b64 s[10:11], 0
	s_mov_b32 s13, 0
	.p2align	6
.LBB1_285:                              ;   Parent Loop BB1_282 Depth=1
                                        ; =>  This Inner Loop Header: Depth=2
	global_load_ubyte v5, v[14:15], off
	v_mov_b32_e32 v17, s16
	v_add_co_u32 v14, vcc_lo, v14, 1
	v_add_co_ci_u32_e64 v15, null, 0, v15, vcc_lo
	s_waitcnt vmcnt(0)
	v_and_b32_e32 v16, 0xffff, v5
	v_lshlrev_b64 v[16:17], s10, v[16:17]
	s_add_u32 s10, s10, 8
	s_addc_u32 s11, s11, 0
	v_cmp_eq_u32_e64 s4, s10, v4
	v_or_b32_e32 v3, v17, v3
	v_or_b32_e32 v2, v16, v2
	s_or_b32 s13, s4, s13
	s_andn2_b32 exec_lo, exec_lo, s13
	s_cbranch_execnz .LBB1_285
; %bb.286:                              ;   in Loop: Header=BB1_282 Depth=1
	s_or_b32 exec_lo, exec_lo, s13
.LBB1_287:                              ;   in Loop: Header=BB1_282 Depth=1
	s_or_b32 exec_lo, exec_lo, s12
	v_mov_b32_e32 v17, v7
	v_mov_b32_e32 v16, v6
.LBB1_288:                              ;   in Loop: Header=BB1_282 Depth=1
	s_or_saveexec_b32 s4, s5
	v_mov_b32_e32 v10, 0
	s_xor_b32 exec_lo, exec_lo, s4
	s_cbranch_execz .LBB1_290
; %bb.289:                              ;   in Loop: Header=BB1_282 Depth=1
	global_load_dwordx2 v[2:3], v[6:7], off
	v_add_nc_u32_e32 v10, -8, v32
.LBB1_290:                              ;   in Loop: Header=BB1_282 Depth=1
	s_or_b32 exec_lo, exec_lo, s4
	v_add_co_u32 v4, s4, v16, 8
	v_add_co_ci_u32_e64 v5, null, 0, v17, s4
                                        ; implicit-def: $vgpr14_vgpr15
	s_mov_b32 s4, exec_lo
	v_cmpx_gt_u32_e32 8, v10
	s_xor_b32 s12, exec_lo, s4
	s_cbranch_execz .LBB1_296
; %bb.291:                              ;   in Loop: Header=BB1_282 Depth=1
	v_mov_b32_e32 v14, 0
	v_mov_b32_e32 v15, 0
	s_mov_b32 s13, exec_lo
	v_cmpx_ne_u32_e32 0, v10
	s_cbranch_execz .LBB1_295
; %bb.292:                              ;   in Loop: Header=BB1_282 Depth=1
	v_mov_b32_e32 v14, 0
	v_mov_b32_e32 v15, 0
	s_mov_b64 s[4:5], 0
	s_mov_b32 s17, 0
	s_mov_b64 s[10:11], 0
	.p2align	6
.LBB1_293:                              ;   Parent Loop BB1_282 Depth=1
                                        ; =>  This Inner Loop Header: Depth=2
	v_add_co_u32 v4, vcc_lo, v16, s10
	v_add_co_ci_u32_e64 v5, null, s11, v17, vcc_lo
	s_add_u32 s10, s10, 1
	s_addc_u32 s11, s11, 0
	v_cmp_eq_u32_e32 vcc_lo, s10, v10
	global_load_ubyte v4, v[4:5], off
	v_mov_b32_e32 v5, s16
	s_waitcnt vmcnt(0)
	v_and_b32_e32 v4, 0xffff, v4
	v_lshlrev_b64 v[4:5], s4, v[4:5]
	s_add_u32 s4, s4, 8
	s_addc_u32 s5, s5, 0
	s_or_b32 s17, vcc_lo, s17
	v_or_b32_e32 v15, v5, v15
	v_or_b32_e32 v14, v4, v14
	s_andn2_b32 exec_lo, exec_lo, s17
	s_cbranch_execnz .LBB1_293
; %bb.294:                              ;   in Loop: Header=BB1_282 Depth=1
	s_or_b32 exec_lo, exec_lo, s17
.LBB1_295:                              ;   in Loop: Header=BB1_282 Depth=1
	s_or_b32 exec_lo, exec_lo, s13
	v_mov_b32_e32 v4, v16
	v_mov_b32_e32 v5, v17
                                        ; implicit-def: $vgpr10
.LBB1_296:                              ;   in Loop: Header=BB1_282 Depth=1
	s_or_saveexec_b32 s4, s12
	v_mov_b32_e32 v18, 0
	s_xor_b32 exec_lo, exec_lo, s4
	s_cbranch_execz .LBB1_298
; %bb.297:                              ;   in Loop: Header=BB1_282 Depth=1
	global_load_dwordx2 v[14:15], v[16:17], off
	v_add_nc_u32_e32 v18, -8, v10
.LBB1_298:                              ;   in Loop: Header=BB1_282 Depth=1
	s_or_b32 exec_lo, exec_lo, s4
	v_add_co_u32 v20, s4, v4, 8
	v_add_co_ci_u32_e64 v21, null, 0, v5, s4
	s_mov_b32 s4, exec_lo
	v_cmpx_gt_u32_e32 8, v18
	s_xor_b32 s12, exec_lo, s4
	s_cbranch_execz .LBB1_304
; %bb.299:                              ;   in Loop: Header=BB1_282 Depth=1
	v_mov_b32_e32 v16, 0
	v_mov_b32_e32 v17, 0
	s_mov_b32 s13, exec_lo
	v_cmpx_ne_u32_e32 0, v18
	s_cbranch_execz .LBB1_303
; %bb.300:                              ;   in Loop: Header=BB1_282 Depth=1
	v_mov_b32_e32 v16, 0
	v_mov_b32_e32 v17, 0
	s_mov_b64 s[4:5], 0
	s_mov_b32 s17, 0
	s_mov_b64 s[10:11], 0
	.p2align	6
.LBB1_301:                              ;   Parent Loop BB1_282 Depth=1
                                        ; =>  This Inner Loop Header: Depth=2
	v_add_co_u32 v19, vcc_lo, v4, s10
	v_add_co_ci_u32_e64 v20, null, s11, v5, vcc_lo
	s_add_u32 s10, s10, 1
	s_addc_u32 s11, s11, 0
	v_cmp_eq_u32_e32 vcc_lo, s10, v18
	global_load_ubyte v10, v[19:20], off
	v_mov_b32_e32 v20, s16
	s_waitcnt vmcnt(0)
	v_and_b32_e32 v19, 0xffff, v10
	v_lshlrev_b64 v[19:20], s4, v[19:20]
	s_add_u32 s4, s4, 8
	s_addc_u32 s5, s5, 0
	s_or_b32 s17, vcc_lo, s17
	v_or_b32_e32 v17, v20, v17
	v_or_b32_e32 v16, v19, v16
	s_andn2_b32 exec_lo, exec_lo, s17
	s_cbranch_execnz .LBB1_301
; %bb.302:                              ;   in Loop: Header=BB1_282 Depth=1
	s_or_b32 exec_lo, exec_lo, s17
.LBB1_303:                              ;   in Loop: Header=BB1_282 Depth=1
	s_or_b32 exec_lo, exec_lo, s13
	v_mov_b32_e32 v21, v5
	v_mov_b32_e32 v20, v4
                                        ; implicit-def: $vgpr18
.LBB1_304:                              ;   in Loop: Header=BB1_282 Depth=1
	s_or_saveexec_b32 s4, s12
	v_mov_b32_e32 v10, 0
	s_xor_b32 exec_lo, exec_lo, s4
	s_cbranch_execz .LBB1_306
; %bb.305:                              ;   in Loop: Header=BB1_282 Depth=1
	global_load_dwordx2 v[16:17], v[4:5], off
	v_add_nc_u32_e32 v10, -8, v18
.LBB1_306:                              ;   in Loop: Header=BB1_282 Depth=1
	s_or_b32 exec_lo, exec_lo, s4
	v_add_co_u32 v4, s4, v20, 8
	v_add_co_ci_u32_e64 v5, null, 0, v21, s4
                                        ; implicit-def: $vgpr18_vgpr19
	s_mov_b32 s4, exec_lo
	v_cmpx_gt_u32_e32 8, v10
	s_xor_b32 s12, exec_lo, s4
	s_cbranch_execz .LBB1_312
; %bb.307:                              ;   in Loop: Header=BB1_282 Depth=1
	v_mov_b32_e32 v18, 0
	v_mov_b32_e32 v19, 0
	s_mov_b32 s13, exec_lo
	v_cmpx_ne_u32_e32 0, v10
	s_cbranch_execz .LBB1_311
; %bb.308:                              ;   in Loop: Header=BB1_282 Depth=1
	v_mov_b32_e32 v18, 0
	v_mov_b32_e32 v19, 0
	s_mov_b64 s[4:5], 0
	s_mov_b32 s17, 0
	s_mov_b64 s[10:11], 0
	.p2align	6
.LBB1_309:                              ;   Parent Loop BB1_282 Depth=1
                                        ; =>  This Inner Loop Header: Depth=2
	v_add_co_u32 v4, vcc_lo, v20, s10
	v_add_co_ci_u32_e64 v5, null, s11, v21, vcc_lo
	s_add_u32 s10, s10, 1
	s_addc_u32 s11, s11, 0
	v_cmp_eq_u32_e32 vcc_lo, s10, v10
	global_load_ubyte v4, v[4:5], off
	v_mov_b32_e32 v5, s16
	s_waitcnt vmcnt(0)
	v_and_b32_e32 v4, 0xffff, v4
	v_lshlrev_b64 v[4:5], s4, v[4:5]
	s_add_u32 s4, s4, 8
	s_addc_u32 s5, s5, 0
	s_or_b32 s17, vcc_lo, s17
	v_or_b32_e32 v19, v5, v19
	v_or_b32_e32 v18, v4, v18
	s_andn2_b32 exec_lo, exec_lo, s17
	s_cbranch_execnz .LBB1_309
; %bb.310:                              ;   in Loop: Header=BB1_282 Depth=1
	s_or_b32 exec_lo, exec_lo, s17
.LBB1_311:                              ;   in Loop: Header=BB1_282 Depth=1
	s_or_b32 exec_lo, exec_lo, s13
	v_mov_b32_e32 v4, v20
	v_mov_b32_e32 v5, v21
                                        ; implicit-def: $vgpr10
.LBB1_312:                              ;   in Loop: Header=BB1_282 Depth=1
	s_or_saveexec_b32 s4, s12
	v_mov_b32_e32 v22, 0
	s_xor_b32 exec_lo, exec_lo, s4
	s_cbranch_execz .LBB1_314
; %bb.313:                              ;   in Loop: Header=BB1_282 Depth=1
	global_load_dwordx2 v[18:19], v[20:21], off
	v_add_nc_u32_e32 v22, -8, v10
.LBB1_314:                              ;   in Loop: Header=BB1_282 Depth=1
	s_or_b32 exec_lo, exec_lo, s4
	v_add_co_u32 v24, s4, v4, 8
	v_add_co_ci_u32_e64 v25, null, 0, v5, s4
	s_mov_b32 s4, exec_lo
	v_cmpx_gt_u32_e32 8, v22
	s_xor_b32 s12, exec_lo, s4
	s_cbranch_execz .LBB1_320
; %bb.315:                              ;   in Loop: Header=BB1_282 Depth=1
	v_mov_b32_e32 v20, 0
	v_mov_b32_e32 v21, 0
	s_mov_b32 s13, exec_lo
	v_cmpx_ne_u32_e32 0, v22
	s_cbranch_execz .LBB1_319
; %bb.316:                              ;   in Loop: Header=BB1_282 Depth=1
	v_mov_b32_e32 v20, 0
	v_mov_b32_e32 v21, 0
	s_mov_b64 s[4:5], 0
	s_mov_b32 s17, 0
	s_mov_b64 s[10:11], 0
	.p2align	6
.LBB1_317:                              ;   Parent Loop BB1_282 Depth=1
                                        ; =>  This Inner Loop Header: Depth=2
	v_add_co_u32 v23, vcc_lo, v4, s10
	v_add_co_ci_u32_e64 v24, null, s11, v5, vcc_lo
	s_add_u32 s10, s10, 1
	s_addc_u32 s11, s11, 0
	v_cmp_eq_u32_e32 vcc_lo, s10, v22
	global_load_ubyte v10, v[23:24], off
	v_mov_b32_e32 v24, s16
	s_waitcnt vmcnt(0)
	v_and_b32_e32 v23, 0xffff, v10
	v_lshlrev_b64 v[23:24], s4, v[23:24]
	s_add_u32 s4, s4, 8
	s_addc_u32 s5, s5, 0
	s_or_b32 s17, vcc_lo, s17
	v_or_b32_e32 v21, v24, v21
	v_or_b32_e32 v20, v23, v20
	s_andn2_b32 exec_lo, exec_lo, s17
	s_cbranch_execnz .LBB1_317
; %bb.318:                              ;   in Loop: Header=BB1_282 Depth=1
	s_or_b32 exec_lo, exec_lo, s17
.LBB1_319:                              ;   in Loop: Header=BB1_282 Depth=1
	s_or_b32 exec_lo, exec_lo, s13
	v_mov_b32_e32 v25, v5
	v_mov_b32_e32 v24, v4
                                        ; implicit-def: $vgpr22
.LBB1_320:                              ;   in Loop: Header=BB1_282 Depth=1
	s_or_saveexec_b32 s4, s12
	v_mov_b32_e32 v10, 0
	s_xor_b32 exec_lo, exec_lo, s4
	s_cbranch_execz .LBB1_322
; %bb.321:                              ;   in Loop: Header=BB1_282 Depth=1
	global_load_dwordx2 v[20:21], v[4:5], off
	v_add_nc_u32_e32 v10, -8, v22
.LBB1_322:                              ;   in Loop: Header=BB1_282 Depth=1
	s_or_b32 exec_lo, exec_lo, s4
	v_add_co_u32 v4, s4, v24, 8
	v_add_co_ci_u32_e64 v5, null, 0, v25, s4
                                        ; implicit-def: $vgpr22_vgpr23
	s_mov_b32 s4, exec_lo
	v_cmpx_gt_u32_e32 8, v10
	s_xor_b32 s12, exec_lo, s4
	s_cbranch_execz .LBB1_328
; %bb.323:                              ;   in Loop: Header=BB1_282 Depth=1
	v_mov_b32_e32 v22, 0
	v_mov_b32_e32 v23, 0
	s_mov_b32 s13, exec_lo
	v_cmpx_ne_u32_e32 0, v10
	s_cbranch_execz .LBB1_327
; %bb.324:                              ;   in Loop: Header=BB1_282 Depth=1
	v_mov_b32_e32 v22, 0
	v_mov_b32_e32 v23, 0
	s_mov_b64 s[4:5], 0
	s_mov_b32 s17, 0
	s_mov_b64 s[10:11], 0
	.p2align	6
.LBB1_325:                              ;   Parent Loop BB1_282 Depth=1
                                        ; =>  This Inner Loop Header: Depth=2
	v_add_co_u32 v4, vcc_lo, v24, s10
	v_add_co_ci_u32_e64 v5, null, s11, v25, vcc_lo
	s_add_u32 s10, s10, 1
	s_addc_u32 s11, s11, 0
	v_cmp_eq_u32_e32 vcc_lo, s10, v10
	global_load_ubyte v4, v[4:5], off
	v_mov_b32_e32 v5, s16
	s_waitcnt vmcnt(0)
	v_and_b32_e32 v4, 0xffff, v4
	v_lshlrev_b64 v[4:5], s4, v[4:5]
	s_add_u32 s4, s4, 8
	s_addc_u32 s5, s5, 0
	s_or_b32 s17, vcc_lo, s17
	v_or_b32_e32 v23, v5, v23
	v_or_b32_e32 v22, v4, v22
	s_andn2_b32 exec_lo, exec_lo, s17
	s_cbranch_execnz .LBB1_325
; %bb.326:                              ;   in Loop: Header=BB1_282 Depth=1
	s_or_b32 exec_lo, exec_lo, s17
.LBB1_327:                              ;   in Loop: Header=BB1_282 Depth=1
	s_or_b32 exec_lo, exec_lo, s13
	v_mov_b32_e32 v4, v24
	v_mov_b32_e32 v5, v25
                                        ; implicit-def: $vgpr10
.LBB1_328:                              ;   in Loop: Header=BB1_282 Depth=1
	s_or_saveexec_b32 s4, s12
	v_mov_b32_e32 v26, 0
	s_xor_b32 exec_lo, exec_lo, s4
	s_cbranch_execz .LBB1_330
; %bb.329:                              ;   in Loop: Header=BB1_282 Depth=1
	global_load_dwordx2 v[22:23], v[24:25], off
	v_add_nc_u32_e32 v26, -8, v10
.LBB1_330:                              ;   in Loop: Header=BB1_282 Depth=1
	s_or_b32 exec_lo, exec_lo, s4
	s_mov_b32 s4, exec_lo
	v_cmpx_gt_u32_e32 8, v26
	s_xor_b32 s10, exec_lo, s4
	s_cbranch_execz .LBB1_336
; %bb.331:                              ;   in Loop: Header=BB1_282 Depth=1
	v_mov_b32_e32 v24, 0
	v_mov_b32_e32 v25, 0
	s_mov_b32 s11, exec_lo
	v_cmpx_ne_u32_e32 0, v26
	s_cbranch_execz .LBB1_335
; %bb.332:                              ;   in Loop: Header=BB1_282 Depth=1
	v_mov_b32_e32 v24, 0
	v_mov_b32_e32 v25, 0
	s_mov_b64 s[4:5], 0
	s_mov_b32 s12, 0
	.p2align	6
.LBB1_333:                              ;   Parent Loop BB1_282 Depth=1
                                        ; =>  This Inner Loop Header: Depth=2
	global_load_ubyte v10, v[4:5], off
	v_mov_b32_e32 v28, s16
	v_add_nc_u32_e32 v26, -1, v26
	v_add_co_u32 v4, vcc_lo, v4, 1
	v_add_co_ci_u32_e64 v5, null, 0, v5, vcc_lo
	v_cmp_eq_u32_e32 vcc_lo, 0, v26
	s_waitcnt vmcnt(0)
	v_and_b32_e32 v27, 0xffff, v10
	v_lshlrev_b64 v[27:28], s4, v[27:28]
	s_add_u32 s4, s4, 8
	s_addc_u32 s5, s5, 0
	s_or_b32 s12, vcc_lo, s12
	v_or_b32_e32 v25, v28, v25
	v_or_b32_e32 v24, v27, v24
	s_andn2_b32 exec_lo, exec_lo, s12
	s_cbranch_execnz .LBB1_333
; %bb.334:                              ;   in Loop: Header=BB1_282 Depth=1
	s_or_b32 exec_lo, exec_lo, s12
.LBB1_335:                              ;   in Loop: Header=BB1_282 Depth=1
	s_or_b32 exec_lo, exec_lo, s11
                                        ; implicit-def: $vgpr4_vgpr5
.LBB1_336:                              ;   in Loop: Header=BB1_282 Depth=1
	s_andn2_saveexec_b32 s4, s10
	s_cbranch_execz .LBB1_338
; %bb.337:                              ;   in Loop: Header=BB1_282 Depth=1
	global_load_dwordx2 v[24:25], v[4:5], off
.LBB1_338:                              ;   in Loop: Header=BB1_282 Depth=1
	s_or_b32 exec_lo, exec_lo, s4
	v_readfirstlane_b32 s4, v36
	v_mov_b32_e32 v4, 0
	v_mov_b32_e32 v5, 0
	v_cmp_eq_u32_e64 s4, s4, v36
	s_and_saveexec_b32 s5, s4
	s_cbranch_execz .LBB1_344
; %bb.339:                              ;   in Loop: Header=BB1_282 Depth=1
	global_load_dwordx2 v[28:29], v11, s[6:7] offset:24 glc dlc
	s_waitcnt vmcnt(0)
	buffer_gl1_inv
	buffer_gl0_inv
	s_clause 0x1
	global_load_dwordx2 v[4:5], v11, s[6:7] offset:40
	global_load_dwordx2 v[26:27], v11, s[6:7]
	s_mov_b32 s10, exec_lo
	s_waitcnt vmcnt(1)
	v_and_b32_e32 v5, v5, v29
	v_and_b32_e32 v4, v4, v28
	v_mul_lo_u32 v5, v5, 24
	v_mul_hi_u32 v10, v4, 24
	v_mul_lo_u32 v4, v4, 24
	v_add_nc_u32_e32 v5, v10, v5
	s_waitcnt vmcnt(0)
	v_add_co_u32 v4, vcc_lo, v26, v4
	v_add_co_ci_u32_e64 v5, null, v27, v5, vcc_lo
	global_load_dwordx2 v[26:27], v[4:5], off glc dlc
	s_waitcnt vmcnt(0)
	global_atomic_cmpswap_x2 v[4:5], v11, v[26:29], s[6:7] offset:24 glc
	s_waitcnt vmcnt(0)
	buffer_gl1_inv
	buffer_gl0_inv
	v_cmpx_ne_u64_e64 v[4:5], v[28:29]
	s_cbranch_execz .LBB1_343
; %bb.340:                              ;   in Loop: Header=BB1_282 Depth=1
	s_mov_b32 s11, 0
	.p2align	6
.LBB1_341:                              ;   Parent Loop BB1_282 Depth=1
                                        ; =>  This Inner Loop Header: Depth=2
	s_sleep 1
	s_clause 0x1
	global_load_dwordx2 v[26:27], v11, s[6:7] offset:40
	global_load_dwordx2 v[38:39], v11, s[6:7]
	v_mov_b32_e32 v29, v5
	v_mov_b32_e32 v28, v4
	s_waitcnt vmcnt(1)
	v_and_b32_e32 v4, v26, v28
	v_and_b32_e32 v10, v27, v29
	s_waitcnt vmcnt(0)
	v_mad_u64_u32 v[4:5], null, v4, 24, v[38:39]
	v_mad_u64_u32 v[26:27], null, v10, 24, v[5:6]
	v_mov_b32_e32 v5, v26
	global_load_dwordx2 v[26:27], v[4:5], off glc dlc
	s_waitcnt vmcnt(0)
	global_atomic_cmpswap_x2 v[4:5], v11, v[26:29], s[6:7] offset:24 glc
	s_waitcnt vmcnt(0)
	buffer_gl1_inv
	buffer_gl0_inv
	v_cmp_eq_u64_e32 vcc_lo, v[4:5], v[28:29]
	s_or_b32 s11, vcc_lo, s11
	s_andn2_b32 exec_lo, exec_lo, s11
	s_cbranch_execnz .LBB1_341
; %bb.342:                              ;   in Loop: Header=BB1_282 Depth=1
	s_or_b32 exec_lo, exec_lo, s11
.LBB1_343:                              ;   in Loop: Header=BB1_282 Depth=1
	s_or_b32 exec_lo, exec_lo, s10
.LBB1_344:                              ;   in Loop: Header=BB1_282 Depth=1
	s_or_b32 exec_lo, exec_lo, s5
	s_clause 0x1
	global_load_dwordx2 v[38:39], v11, s[6:7] offset:40
	global_load_dwordx4 v[26:29], v11, s[6:7]
	v_readfirstlane_b32 s11, v5
	v_readfirstlane_b32 s10, v4
	s_mov_b32 s5, exec_lo
	s_waitcnt vmcnt(1)
	v_readfirstlane_b32 s12, v38
	v_readfirstlane_b32 s13, v39
	s_and_b64 s[12:13], s[12:13], s[10:11]
	s_mul_i32 s17, s13, 24
	s_mul_hi_u32 s18, s12, 24
	s_mul_i32 s19, s12, 24
	s_add_i32 s18, s18, s17
	s_waitcnt vmcnt(0)
	v_add_co_u32 v4, vcc_lo, v26, s19
	v_add_co_ci_u32_e64 v5, null, s18, v27, vcc_lo
	s_and_saveexec_b32 s17, s4
	s_cbranch_execz .LBB1_346
; %bb.345:                              ;   in Loop: Header=BB1_282 Depth=1
	v_mov_b32_e32 v10, s5
	global_store_dwordx4 v[4:5], v[10:13], off offset:8
.LBB1_346:                              ;   in Loop: Header=BB1_282 Depth=1
	s_or_b32 exec_lo, exec_lo, s17
	v_cmp_gt_u64_e32 vcc_lo, 57, v[30:31]
	s_lshl_b64 s[12:13], s[12:13], 12
	v_and_b32_e32 v0, 0xffffff1f, v0
	v_lshl_add_u32 v35, v32, 2, 28
	v_cndmask_b32_e32 v10, 0, v34, vcc_lo
	v_add_co_u32 v28, vcc_lo, v28, s12
	v_add_co_ci_u32_e64 v29, null, s13, v29, vcc_lo
	v_or_b32_e32 v0, v0, v10
	v_readfirstlane_b32 s12, v28
	v_readfirstlane_b32 s13, v29
	v_and_or_b32 v0, 0x1e0, v35, v0
	global_store_dwordx4 v37, v[14:17], s[12:13] offset:16
	global_store_dwordx4 v37, v[18:21], s[12:13] offset:32
	global_store_dwordx4 v37, v[0:3], s[12:13]
	global_store_dwordx4 v37, v[22:25], s[12:13] offset:48
	s_and_saveexec_b32 s5, s4
	s_cbranch_execz .LBB1_354
; %bb.347:                              ;   in Loop: Header=BB1_282 Depth=1
	s_clause 0x1
	global_load_dwordx2 v[18:19], v11, s[6:7] offset:32 glc dlc
	global_load_dwordx2 v[0:1], v11, s[6:7] offset:40
	v_mov_b32_e32 v16, s10
	v_mov_b32_e32 v17, s11
	s_waitcnt vmcnt(0)
	v_readfirstlane_b32 s12, v0
	v_readfirstlane_b32 s13, v1
	s_and_b64 s[12:13], s[12:13], s[10:11]
	s_mul_i32 s13, s13, 24
	s_mul_hi_u32 s17, s12, 24
	s_mul_i32 s12, s12, 24
	s_add_i32 s17, s17, s13
	v_add_co_u32 v14, vcc_lo, v26, s12
	v_add_co_ci_u32_e64 v15, null, s17, v27, vcc_lo
	s_mov_b32 s12, exec_lo
	global_store_dwordx2 v[14:15], v[18:19], off
	s_waitcnt_vscnt null, 0x0
	global_atomic_cmpswap_x2 v[2:3], v11, v[16:19], s[6:7] offset:32 glc
	s_waitcnt vmcnt(0)
	v_cmpx_ne_u64_e64 v[2:3], v[18:19]
	s_cbranch_execz .LBB1_350
; %bb.348:                              ;   in Loop: Header=BB1_282 Depth=1
	s_mov_b32 s13, 0
.LBB1_349:                              ;   Parent Loop BB1_282 Depth=1
                                        ; =>  This Inner Loop Header: Depth=2
	v_mov_b32_e32 v0, s10
	v_mov_b32_e32 v1, s11
	s_sleep 1
	global_store_dwordx2 v[14:15], v[2:3], off
	s_waitcnt_vscnt null, 0x0
	global_atomic_cmpswap_x2 v[0:1], v11, v[0:3], s[6:7] offset:32 glc
	s_waitcnt vmcnt(0)
	v_cmp_eq_u64_e32 vcc_lo, v[0:1], v[2:3]
	v_mov_b32_e32 v3, v1
	v_mov_b32_e32 v2, v0
	s_or_b32 s13, vcc_lo, s13
	s_andn2_b32 exec_lo, exec_lo, s13
	s_cbranch_execnz .LBB1_349
.LBB1_350:                              ;   in Loop: Header=BB1_282 Depth=1
	s_or_b32 exec_lo, exec_lo, s12
	global_load_dwordx2 v[0:1], v11, s[6:7] offset:16
	s_mov_b32 s13, exec_lo
	s_mov_b32 s12, exec_lo
	v_mbcnt_lo_u32_b32 v2, s13, 0
	v_cmpx_eq_u32_e32 0, v2
	s_cbranch_execz .LBB1_352
; %bb.351:                              ;   in Loop: Header=BB1_282 Depth=1
	s_bcnt1_i32_b32 s13, s13
	v_mov_b32_e32 v10, s13
	s_waitcnt vmcnt(0)
	global_atomic_add_x2 v[0:1], v[10:11], off offset:8
.LBB1_352:                              ;   in Loop: Header=BB1_282 Depth=1
	s_or_b32 exec_lo, exec_lo, s12
	s_waitcnt vmcnt(0)
	global_load_dwordx2 v[2:3], v[0:1], off offset:16
	s_waitcnt vmcnt(0)
	v_cmp_eq_u64_e32 vcc_lo, 0, v[2:3]
	s_cbranch_vccnz .LBB1_354
; %bb.353:                              ;   in Loop: Header=BB1_282 Depth=1
	global_load_dword v10, v[0:1], off offset:24
	s_waitcnt vmcnt(0)
	v_readfirstlane_b32 s12, v10
	s_waitcnt_vscnt null, 0x0
	global_store_dwordx2 v[2:3], v[10:11], off
	s_and_b32 m0, s12, 0x7fffff
	s_sendmsg sendmsg(MSG_INTERRUPT)
.LBB1_354:                              ;   in Loop: Header=BB1_282 Depth=1
	s_or_b32 exec_lo, exec_lo, s5
	v_add_co_u32 v0, vcc_lo, v28, v37
	v_add_co_ci_u32_e64 v1, null, 0, v29, vcc_lo
	s_branch .LBB1_358
	.p2align	6
.LBB1_355:                              ;   in Loop: Header=BB1_358 Depth=2
	s_or_b32 exec_lo, exec_lo, s5
	v_readfirstlane_b32 s5, v2
	s_cmp_eq_u32 s5, 0
	s_cbranch_scc1 .LBB1_357
; %bb.356:                              ;   in Loop: Header=BB1_358 Depth=2
	s_sleep 1
	s_cbranch_execnz .LBB1_358
	s_branch .LBB1_360
	.p2align	6
.LBB1_357:                              ;   in Loop: Header=BB1_282 Depth=1
	s_branch .LBB1_360
.LBB1_358:                              ;   Parent Loop BB1_282 Depth=1
                                        ; =>  This Inner Loop Header: Depth=2
	v_mov_b32_e32 v2, 1
	s_and_saveexec_b32 s5, s4
	s_cbranch_execz .LBB1_355
; %bb.359:                              ;   in Loop: Header=BB1_358 Depth=2
	global_load_dword v2, v[4:5], off offset:20 glc dlc
	s_waitcnt vmcnt(0)
	buffer_gl1_inv
	buffer_gl0_inv
	v_and_b32_e32 v2, 1, v2
	s_branch .LBB1_355
.LBB1_360:                              ;   in Loop: Header=BB1_282 Depth=1
	global_load_dwordx2 v[0:1], v[0:1], off
	s_and_saveexec_b32 s12, s4
	s_cbranch_execz .LBB1_281
; %bb.361:                              ;   in Loop: Header=BB1_282 Depth=1
	s_clause 0x2
	global_load_dwordx2 v[2:3], v11, s[6:7] offset:40
	global_load_dwordx2 v[18:19], v11, s[6:7] offset:24 glc dlc
	global_load_dwordx2 v[4:5], v11, s[6:7]
	s_waitcnt vmcnt(2)
	v_readfirstlane_b32 s18, v2
	v_readfirstlane_b32 s19, v3
	s_add_u32 s13, s18, 1
	s_addc_u32 s17, s19, 0
	s_add_u32 s4, s13, s10
	s_addc_u32 s5, s17, s11
	s_cmp_eq_u64 s[4:5], 0
	s_cselect_b32 s5, s17, s5
	s_cselect_b32 s4, s13, s4
	v_mov_b32_e32 v17, s5
	s_and_b64 s[10:11], s[4:5], s[18:19]
	v_mov_b32_e32 v16, s4
	s_mul_i32 s11, s11, 24
	s_mul_hi_u32 s13, s10, 24
	s_mul_i32 s10, s10, 24
	s_add_i32 s13, s13, s11
	s_waitcnt vmcnt(0)
	v_add_co_u32 v14, vcc_lo, v4, s10
	v_add_co_ci_u32_e64 v15, null, s13, v5, vcc_lo
	global_store_dwordx2 v[14:15], v[18:19], off
	s_waitcnt_vscnt null, 0x0
	global_atomic_cmpswap_x2 v[4:5], v11, v[16:19], s[6:7] offset:24 glc
	s_waitcnt vmcnt(0)
	v_cmp_ne_u64_e32 vcc_lo, v[4:5], v[18:19]
	s_and_b32 exec_lo, exec_lo, vcc_lo
	s_cbranch_execz .LBB1_281
; %bb.362:                              ;   in Loop: Header=BB1_282 Depth=1
	s_mov_b32 s10, 0
.LBB1_363:                              ;   Parent Loop BB1_282 Depth=1
                                        ; =>  This Inner Loop Header: Depth=2
	v_mov_b32_e32 v2, s4
	v_mov_b32_e32 v3, s5
	s_sleep 1
	global_store_dwordx2 v[14:15], v[4:5], off
	s_waitcnt_vscnt null, 0x0
	global_atomic_cmpswap_x2 v[2:3], v11, v[2:5], s[6:7] offset:24 glc
	s_waitcnt vmcnt(0)
	v_cmp_eq_u64_e32 vcc_lo, v[2:3], v[4:5]
	v_mov_b32_e32 v5, v3
	v_mov_b32_e32 v4, v2
	s_or_b32 s10, vcc_lo, s10
	s_andn2_b32 exec_lo, exec_lo, s10
	s_cbranch_execnz .LBB1_363
	s_branch .LBB1_281
.LBB1_364:
	s_or_b32 exec_lo, exec_lo, s15
                                        ; implicit-def: $vgpr37
                                        ; implicit-def: $vgpr36
.LBB1_365:
	s_andn2_saveexec_b32 s14, s14
	s_cbranch_execz .LBB1_393
; %bb.366:
	v_readfirstlane_b32 s4, v36
	v_mov_b32_e32 v10, 0
	v_mov_b32_e32 v11, 0
	v_cmp_eq_u32_e64 s4, s4, v36
	s_and_saveexec_b32 s5, s4
	s_cbranch_execz .LBB1_372
; %bb.367:
	v_mov_b32_e32 v2, 0
	s_mov_b32 s10, exec_lo
	global_load_dwordx2 v[5:6], v2, s[6:7] offset:24 glc dlc
	s_waitcnt vmcnt(0)
	buffer_gl1_inv
	buffer_gl0_inv
	s_clause 0x1
	global_load_dwordx2 v[3:4], v2, s[6:7] offset:40
	global_load_dwordx2 v[10:11], v2, s[6:7]
	s_waitcnt vmcnt(1)
	v_and_b32_e32 v4, v4, v6
	v_and_b32_e32 v3, v3, v5
	v_mul_lo_u32 v4, v4, 24
	v_mul_hi_u32 v7, v3, 24
	v_mul_lo_u32 v3, v3, 24
	v_add_nc_u32_e32 v4, v7, v4
	s_waitcnt vmcnt(0)
	v_add_co_u32 v3, vcc_lo, v10, v3
	v_add_co_ci_u32_e64 v4, null, v11, v4, vcc_lo
	global_load_dwordx2 v[3:4], v[3:4], off glc dlc
	s_waitcnt vmcnt(0)
	global_atomic_cmpswap_x2 v[10:11], v2, v[3:6], s[6:7] offset:24 glc
	s_waitcnt vmcnt(0)
	buffer_gl1_inv
	buffer_gl0_inv
	v_cmpx_ne_u64_e64 v[10:11], v[5:6]
	s_cbranch_execz .LBB1_371
; %bb.368:
	s_mov_b32 s11, 0
	.p2align	6
.LBB1_369:                              ; =>This Inner Loop Header: Depth=1
	s_sleep 1
	s_clause 0x1
	global_load_dwordx2 v[3:4], v2, s[6:7] offset:40
	global_load_dwordx2 v[12:13], v2, s[6:7]
	v_mov_b32_e32 v5, v10
	v_mov_b32_e32 v6, v11
	s_waitcnt vmcnt(1)
	v_and_b32_e32 v3, v3, v5
	v_and_b32_e32 v4, v4, v6
	s_waitcnt vmcnt(0)
	v_mad_u64_u32 v[10:11], null, v3, 24, v[12:13]
	v_mov_b32_e32 v3, v11
	v_mad_u64_u32 v[3:4], null, v4, 24, v[3:4]
	v_mov_b32_e32 v11, v3
	global_load_dwordx2 v[3:4], v[10:11], off glc dlc
	s_waitcnt vmcnt(0)
	global_atomic_cmpswap_x2 v[10:11], v2, v[3:6], s[6:7] offset:24 glc
	s_waitcnt vmcnt(0)
	buffer_gl1_inv
	buffer_gl0_inv
	v_cmp_eq_u64_e32 vcc_lo, v[10:11], v[5:6]
	s_or_b32 s11, vcc_lo, s11
	s_andn2_b32 exec_lo, exec_lo, s11
	s_cbranch_execnz .LBB1_369
; %bb.370:
	s_or_b32 exec_lo, exec_lo, s11
.LBB1_371:
	s_or_b32 exec_lo, exec_lo, s10
.LBB1_372:
	s_or_b32 exec_lo, exec_lo, s5
	v_mov_b32_e32 v2, 0
	v_readfirstlane_b32 s11, v11
	v_readfirstlane_b32 s10, v10
	s_mov_b32 s5, exec_lo
	s_clause 0x1
	global_load_dwordx2 v[12:13], v2, s[6:7] offset:40
	global_load_dwordx4 v[4:7], v2, s[6:7]
	s_waitcnt vmcnt(1)
	v_readfirstlane_b32 s12, v12
	v_readfirstlane_b32 s13, v13
	s_and_b64 s[12:13], s[12:13], s[10:11]
	s_mul_i32 s15, s13, 24
	s_mul_hi_u32 s16, s12, 24
	s_mul_i32 s17, s12, 24
	s_add_i32 s16, s16, s15
	s_waitcnt vmcnt(0)
	v_add_co_u32 v10, vcc_lo, v4, s17
	v_add_co_ci_u32_e64 v11, null, s16, v5, vcc_lo
	s_and_saveexec_b32 s15, s4
	s_cbranch_execz .LBB1_374
; %bb.373:
	v_mov_b32_e32 v12, s5
	v_mov_b32_e32 v13, v2
	;; [unrolled: 1-line block ×4, first 2 shown]
	global_store_dwordx4 v[10:11], v[12:15], off offset:8
.LBB1_374:
	s_or_b32 exec_lo, exec_lo, s15
	s_lshl_b64 s[12:13], s[12:13], 12
	s_mov_b32 s16, 0
	v_add_co_u32 v6, vcc_lo, v6, s12
	v_add_co_ci_u32_e64 v7, null, s13, v7, vcc_lo
	s_mov_b32 s17, s16
	v_readfirstlane_b32 s12, v6
	v_add_co_u32 v6, vcc_lo, v6, v37
	s_mov_b32 s18, s16
	s_mov_b32 s19, s16
	v_and_or_b32 v0, 0xffffff1f, v0, 32
	v_mov_b32_e32 v3, v2
	v_readfirstlane_b32 s13, v7
	v_mov_b32_e32 v12, s16
	v_add_co_ci_u32_e64 v7, null, 0, v7, vcc_lo
	v_mov_b32_e32 v13, s17
	v_mov_b32_e32 v14, s18
	;; [unrolled: 1-line block ×3, first 2 shown]
	global_store_dwordx4 v37, v[0:3], s[12:13]
	global_store_dwordx4 v37, v[12:15], s[12:13] offset:16
	global_store_dwordx4 v37, v[12:15], s[12:13] offset:32
	;; [unrolled: 1-line block ×3, first 2 shown]
	s_and_saveexec_b32 s5, s4
	s_cbranch_execz .LBB1_382
; %bb.375:
	v_mov_b32_e32 v12, 0
	v_mov_b32_e32 v13, s10
	;; [unrolled: 1-line block ×3, first 2 shown]
	s_clause 0x1
	global_load_dwordx2 v[15:16], v12, s[6:7] offset:32 glc dlc
	global_load_dwordx2 v[0:1], v12, s[6:7] offset:40
	s_waitcnt vmcnt(0)
	v_readfirstlane_b32 s12, v0
	v_readfirstlane_b32 s13, v1
	s_and_b64 s[12:13], s[12:13], s[10:11]
	s_mul_i32 s13, s13, 24
	s_mul_hi_u32 s15, s12, 24
	s_mul_i32 s12, s12, 24
	s_add_i32 s15, s15, s13
	v_add_co_u32 v4, vcc_lo, v4, s12
	v_add_co_ci_u32_e64 v5, null, s15, v5, vcc_lo
	s_mov_b32 s12, exec_lo
	global_store_dwordx2 v[4:5], v[15:16], off
	s_waitcnt_vscnt null, 0x0
	global_atomic_cmpswap_x2 v[2:3], v12, v[13:16], s[6:7] offset:32 glc
	s_waitcnt vmcnt(0)
	v_cmpx_ne_u64_e64 v[2:3], v[15:16]
	s_cbranch_execz .LBB1_378
; %bb.376:
	s_mov_b32 s13, 0
.LBB1_377:                              ; =>This Inner Loop Header: Depth=1
	v_mov_b32_e32 v0, s10
	v_mov_b32_e32 v1, s11
	s_sleep 1
	global_store_dwordx2 v[4:5], v[2:3], off
	s_waitcnt_vscnt null, 0x0
	global_atomic_cmpswap_x2 v[0:1], v12, v[0:3], s[6:7] offset:32 glc
	s_waitcnt vmcnt(0)
	v_cmp_eq_u64_e32 vcc_lo, v[0:1], v[2:3]
	v_mov_b32_e32 v3, v1
	v_mov_b32_e32 v2, v0
	s_or_b32 s13, vcc_lo, s13
	s_andn2_b32 exec_lo, exec_lo, s13
	s_cbranch_execnz .LBB1_377
.LBB1_378:
	s_or_b32 exec_lo, exec_lo, s12
	v_mov_b32_e32 v3, 0
	s_mov_b32 s13, exec_lo
	s_mov_b32 s12, exec_lo
	v_mbcnt_lo_u32_b32 v2, s13, 0
	global_load_dwordx2 v[0:1], v3, s[6:7] offset:16
	v_cmpx_eq_u32_e32 0, v2
	s_cbranch_execz .LBB1_380
; %bb.379:
	s_bcnt1_i32_b32 s13, s13
	v_mov_b32_e32 v2, s13
	s_waitcnt vmcnt(0)
	global_atomic_add_x2 v[0:1], v[2:3], off offset:8
.LBB1_380:
	s_or_b32 exec_lo, exec_lo, s12
	s_waitcnt vmcnt(0)
	global_load_dwordx2 v[2:3], v[0:1], off offset:16
	s_waitcnt vmcnt(0)
	v_cmp_eq_u64_e32 vcc_lo, 0, v[2:3]
	s_cbranch_vccnz .LBB1_382
; %bb.381:
	global_load_dword v0, v[0:1], off offset:24
	v_mov_b32_e32 v1, 0
	s_waitcnt vmcnt(0)
	v_readfirstlane_b32 s12, v0
	s_waitcnt_vscnt null, 0x0
	global_store_dwordx2 v[2:3], v[0:1], off
	s_and_b32 m0, s12, 0x7fffff
	s_sendmsg sendmsg(MSG_INTERRUPT)
.LBB1_382:
	s_or_b32 exec_lo, exec_lo, s5
	s_branch .LBB1_386
	.p2align	6
.LBB1_383:                              ;   in Loop: Header=BB1_386 Depth=1
	s_or_b32 exec_lo, exec_lo, s5
	v_readfirstlane_b32 s5, v0
	s_cmp_eq_u32 s5, 0
	s_cbranch_scc1 .LBB1_385
; %bb.384:                              ;   in Loop: Header=BB1_386 Depth=1
	s_sleep 1
	s_cbranch_execnz .LBB1_386
	s_branch .LBB1_388
	.p2align	6
.LBB1_385:
	s_branch .LBB1_388
.LBB1_386:                              ; =>This Inner Loop Header: Depth=1
	v_mov_b32_e32 v0, 1
	s_and_saveexec_b32 s5, s4
	s_cbranch_execz .LBB1_383
; %bb.387:                              ;   in Loop: Header=BB1_386 Depth=1
	global_load_dword v0, v[10:11], off offset:20 glc dlc
	s_waitcnt vmcnt(0)
	buffer_gl1_inv
	buffer_gl0_inv
	v_and_b32_e32 v0, 1, v0
	s_branch .LBB1_383
.LBB1_388:
	global_load_dwordx2 v[0:1], v[6:7], off
	s_and_saveexec_b32 s12, s4
	s_cbranch_execz .LBB1_392
; %bb.389:
	v_mov_b32_e32 v10, 0
	s_clause 0x2
	global_load_dwordx2 v[2:3], v10, s[6:7] offset:40
	global_load_dwordx2 v[13:14], v10, s[6:7] offset:24 glc dlc
	global_load_dwordx2 v[4:5], v10, s[6:7]
	s_waitcnt vmcnt(2)
	v_readfirstlane_b32 s16, v2
	v_readfirstlane_b32 s17, v3
	s_add_u32 s13, s16, 1
	s_addc_u32 s15, s17, 0
	s_add_u32 s4, s13, s10
	s_addc_u32 s5, s15, s11
	s_cmp_eq_u64 s[4:5], 0
	s_cselect_b32 s5, s15, s5
	s_cselect_b32 s4, s13, s4
	v_mov_b32_e32 v12, s5
	s_and_b64 s[10:11], s[4:5], s[16:17]
	v_mov_b32_e32 v11, s4
	s_mul_i32 s11, s11, 24
	s_mul_hi_u32 s13, s10, 24
	s_mul_i32 s10, s10, 24
	s_add_i32 s13, s13, s11
	s_waitcnt vmcnt(0)
	v_add_co_u32 v6, vcc_lo, v4, s10
	v_add_co_ci_u32_e64 v7, null, s13, v5, vcc_lo
	global_store_dwordx2 v[6:7], v[13:14], off
	s_waitcnt_vscnt null, 0x0
	global_atomic_cmpswap_x2 v[4:5], v10, v[11:14], s[6:7] offset:24 glc
	s_waitcnt vmcnt(0)
	v_cmp_ne_u64_e32 vcc_lo, v[4:5], v[13:14]
	s_and_b32 exec_lo, exec_lo, vcc_lo
	s_cbranch_execz .LBB1_392
; %bb.390:
	s_mov_b32 s10, 0
.LBB1_391:                              ; =>This Inner Loop Header: Depth=1
	v_mov_b32_e32 v2, s4
	v_mov_b32_e32 v3, s5
	s_sleep 1
	global_store_dwordx2 v[6:7], v[4:5], off
	s_waitcnt_vscnt null, 0x0
	global_atomic_cmpswap_x2 v[2:3], v10, v[2:5], s[6:7] offset:24 glc
	s_waitcnt vmcnt(0)
	v_cmp_eq_u64_e32 vcc_lo, v[2:3], v[4:5]
	v_mov_b32_e32 v5, v3
	v_mov_b32_e32 v4, v2
	s_or_b32 s10, vcc_lo, s10
	s_andn2_b32 exec_lo, exec_lo, s10
	s_cbranch_execnz .LBB1_391
.LBB1_392:
	s_or_b32 exec_lo, exec_lo, s12
.LBB1_393:
	s_or_b32 exec_lo, exec_lo, s14
	v_mov_b32_e32 v2, v8
	v_mov_b32_e32 v3, v9
	s_mov_b32 s4, 0
.LBB1_394:                              ; =>This Inner Loop Header: Depth=1
	global_load_ubyte v6, v[2:3], off
	v_add_co_u32 v4, vcc_lo, v2, 1
	v_add_co_ci_u32_e64 v5, null, 0, v3, vcc_lo
	v_mov_b32_e32 v2, v4
	v_mov_b32_e32 v3, v5
	s_waitcnt vmcnt(0)
	v_cmp_eq_u16_e32 vcc_lo, 0, v6
	s_or_b32 s4, vcc_lo, s4
	s_andn2_b32 exec_lo, exec_lo, s4
	s_cbranch_execnz .LBB1_394
; %bb.395:
	s_or_b32 exec_lo, exec_lo, s4
	v_sub_nc_u32_e32 v4, v4, v8
	v_mov_b32_e32 v2, v8
	v_mov_b32_e32 v3, v9
	;; [unrolled: 1-line block ×3, first 2 shown]
	s_getpc_b64 s[4:5]
	s_add_u32 s4, s4, __ockl_fprintf_append_string_n@rel32@lo+4
	s_addc_u32 s5, s5, __ockl_fprintf_append_string_n@rel32@hi+12
	v_ashrrev_i32_e32 v5, 31, v4
	s_swappc_b64 s[30:31], s[4:5]
	s_trap 2
.Lfunc_end1:
	.size	__assert_fail, .Lfunc_end1-__assert_fail
                                        ; -- End function
	.set .L__assert_fail.num_vgpr, max(50, .L__ockl_fprintf_append_string_n.num_vgpr)
	.set .L__assert_fail.num_agpr, max(0, .L__ockl_fprintf_append_string_n.num_agpr)
	.set .L__assert_fail.numbered_sgpr, max(34, .L__ockl_fprintf_append_string_n.numbered_sgpr)
	.set .L__assert_fail.num_named_barrier, max(0, .L__ockl_fprintf_append_string_n.num_named_barrier)
	.set .L__assert_fail.private_seg_size, 64+max(.L__ockl_fprintf_append_string_n.private_seg_size)
	.set .L__assert_fail.uses_vcc, or(1, .L__ockl_fprintf_append_string_n.uses_vcc)
	.set .L__assert_fail.uses_flat_scratch, or(0, .L__ockl_fprintf_append_string_n.uses_flat_scratch)
	.set .L__assert_fail.has_dyn_sized_stack, or(0, .L__ockl_fprintf_append_string_n.has_dyn_sized_stack)
	.set .L__assert_fail.has_recursion, or(0, .L__ockl_fprintf_append_string_n.has_recursion)
	.set .L__assert_fail.has_indirect_call, or(0, .L__ockl_fprintf_append_string_n.has_indirect_call)
	.section	.AMDGPU.csdata,"",@progbits
; Function info:
; codeLenInByte = 15516
; TotalNumSgprs: 36
; NumVgprs: 50
; ScratchSize: 64
; MemoryBound: 0
	.section	.text._ZN9rocsolver6v33100L18potf2_kernel_smallIfiiPfEEvbT0_T2_lS3_lPT1_,"axG",@progbits,_ZN9rocsolver6v33100L18potf2_kernel_smallIfiiPfEEvbT0_T2_lS3_lPT1_,comdat
	.globl	_ZN9rocsolver6v33100L18potf2_kernel_smallIfiiPfEEvbT0_T2_lS3_lPT1_ ; -- Begin function _ZN9rocsolver6v33100L18potf2_kernel_smallIfiiPfEEvbT0_T2_lS3_lPT1_
	.p2align	8
	.type	_ZN9rocsolver6v33100L18potf2_kernel_smallIfiiPfEEvbT0_T2_lS3_lPT1_,@function
_ZN9rocsolver6v33100L18potf2_kernel_smallIfiiPfEEvbT0_T2_lS3_lPT1_: ; @_ZN9rocsolver6v33100L18potf2_kernel_smallIfiiPfEEvbT0_T2_lS3_lPT1_
; %bb.0:
	s_add_u32 s6, s6, s10
	s_mov_b32 s32, 0
	s_addc_u32 s7, s7, 0
	s_setreg_b32 hwreg(HW_REG_FLAT_SCR_LO), s6
	s_setreg_b32 hwreg(HW_REG_FLAT_SCR_HI), s7
	s_load_dwordx2 s[46:47], s[4:5], 0x3c
	s_add_u32 s0, s0, s10
	v_mov_b32_e32 v43, v2
	v_mov_b32_e32 v41, v1
	;; [unrolled: 1-line block ×3, first 2 shown]
	s_addc_u32 s1, s1, 0
	s_mov_b64 s[26:27], s[4:5]
	s_mov_b32 s44, s9
	s_waitcnt lgkmcnt(0)
	s_and_b32 s4, s47, 0xffff
	s_cmp_eq_u32 s4, 1
	s_cbranch_scc1 .LBB2_2
; %bb.1:
	s_add_u32 s8, s26, 48
	s_addc_u32 s9, s27, 0
	s_getpc_b64 s[4:5]
	s_add_u32 s4, s4, .str@rel32@lo+4
	s_addc_u32 s5, s5, .str@rel32@hi+12
	s_getpc_b64 s[6:7]
	s_add_u32 s6, s6, __PRETTY_FUNCTION__._ZN9rocsolver6v33100L18potf2_kernel_smallIfiiPfEEvbT0_T2_lS3_lPT1_@rel32@lo+4
	s_addc_u32 s7, s7, __PRETTY_FUNCTION__._ZN9rocsolver6v33100L18potf2_kernel_smallIfiiPfEEvbT0_T2_lS3_lPT1_@rel32@hi+12
	v_mov_b32_e32 v0, s4
	v_mov_b32_e32 v1, s5
	;; [unrolled: 1-line block ×5, first 2 shown]
	s_getpc_b64 s[10:11]
	s_add_u32 s10, s10, __assert_fail@rel32@lo+4
	s_addc_u32 s11, s11, __assert_fail@rel32@hi+12
	s_swappc_b64 s[30:31], s[10:11]
	s_mov_b32 s47, -1
	s_cbranch_execz .LBB2_3
	s_branch .LBB2_114
.LBB2_2:
	s_mov_b32 s47, 0
.LBB2_3:
	s_load_dwordx4 s[36:39], s[26:27], 0x8
	s_waitcnt lgkmcnt(0)
	s_cmp_lg_u64 s[36:37], 0
	s_cbranch_scc0 .LBB2_22
; %bb.4:
	s_load_dwordx4 s[40:43], s[26:27], 0x20
	s_waitcnt lgkmcnt(0)
	s_cmp_lg_u64 s[42:43], 0
	s_cbranch_scc0 .LBB2_23
; %bb.5:
	s_cmp_lg_u64 s[36:37], 0
	s_cbranch_scc0 .LBB2_24
; %bb.6:
	s_clause 0x1
	s_load_dwordx2 s[28:29], s[26:27], 0x0
	s_load_dword s34, s[26:27], 0x18
	s_mul_i32 s5, s41, s44
	s_mul_hi_u32 s6, s40, s44
	s_mul_i32 s4, s40, s44
	s_add_i32 s5, s6, s5
	s_mov_b32 s45, 0
	s_lshl_b64 s[40:41], s[4:5], 2
	s_mov_b32 s5, -1
	s_add_u32 s4, s36, s40
	s_addc_u32 s6, s37, s41
	s_lshl_b64 s[38:39], s[38:39], 2
	s_waitcnt lgkmcnt(0)
	s_waitcnt_vscnt null, 0x0
	s_add_u32 s48, s4, s38
	s_addc_u32 s49, s6, s39
	s_barrier
	buffer_gl0_inv
	s_bitcmp1_b32 s28, 0
	v_cmp_gt_i32_e64 s25, s29, v41
	s_cselect_b32 s4, -1, 0
	s_lshr_b32 s28, s46, 16
	s_xor_b32 s52, s4, -1
	s_and_b32 s46, s46, 0xffff
	s_and_b32 vcc_lo, exec_lo, s52
	s_cbranch_vccz .LBB2_25
; %bb.7:
	s_mov_b32 s4, -1
	s_and_saveexec_b32 s35, s25
	s_cbranch_execz .LBB2_37
; %bb.8:
	v_add_nc_u32_e32 v2, v41, v42
	v_lshl_add_u32 v3, v42, 2, 0
	v_mov_b32_e32 v4, v41
	s_lshl_b32 s4, s29, 1
	s_mov_b32 s8, 0
	s_or_b32 s10, s4, 1
	s_lshl_b32 s11, s46, 2
                                        ; implicit-def: $sgpr9
                                        ; implicit-def: $sgpr7
                                        ; implicit-def: $sgpr6
                                        ; implicit-def: $sgpr12
	s_branch .LBB2_10
.LBB2_9:                                ;   in Loop: Header=BB2_10 Depth=1
	s_or_b32 exec_lo, exec_lo, s15
	s_xor_b32 s4, s13, -1
	s_xor_b32 s13, s14, -1
	s_and_b32 s5, exec_lo, s5
	s_or_b32 s8, s5, s8
	s_andn2_b32 s5, s6, exec_lo
	s_and_b32 s6, s12, exec_lo
	s_and_b32 s4, s4, exec_lo
	s_or_b32 s6, s5, s6
	s_andn2_b32 s5, s7, exec_lo
	s_andn2_b32 s9, s9, exec_lo
	s_and_b32 s13, s13, exec_lo
	s_or_b32 s7, s5, s4
	s_or_b32 s9, s9, s13
	s_andn2_b32 exec_lo, exec_lo, s8
	s_cbranch_execz .LBB2_26
.LBB2_10:                               ; =>This Loop Header: Depth=1
                                        ;     Child Loop BB2_15 Depth 2
	v_add_nc_u32_e32 v0, v4, v42
	s_mov_b32 s4, -1
	s_mov_b32 s15, exec_lo
                                        ; implicit-def: $sgpr14
                                        ; implicit-def: $sgpr13
                                        ; implicit-def: $sgpr16
	v_cmpx_gt_i32_e64 s29, v0
	s_cbranch_execz .LBB2_20
; %bb.11:                               ;   in Loop: Header=BB2_10 Depth=1
	v_sub_nc_u32_e32 v1, s10, v4
	v_mad_i64_i32 v[5:6], null, v4, s34, 0
	s_mov_b32 s17, 0
	v_cmp_lt_i32_e32 vcc_lo, -1, v4
	v_mul_lo_u32 v1, v1, v4
                                        ; implicit-def: $sgpr18
                                        ; implicit-def: $sgpr16
                                        ; implicit-def: $sgpr13
                                        ; implicit-def: $sgpr14
                                        ; implicit-def: $sgpr20
                                        ; implicit-def: $sgpr23
                                        ; implicit-def: $sgpr21
                                        ; implicit-def: $sgpr19
                                        ; implicit-def: $sgpr22
	v_lshlrev_b64 v[5:6], 2, v[5:6]
	v_lshrrev_b32_e32 v7, 31, v1
	v_add_co_u32 v5, s4, s48, v5
	v_add_co_ci_u32_e64 v6, null, s49, v6, s4
	v_add_lshl_u32 v1, v1, v7, 1
	v_cmp_ge_u32_e64 s4, v2, v4
	v_and_b32_e32 v1, -4, v1
	v_add_nc_u32_e32 v7, v3, v1
	s_branch .LBB2_15
.LBB2_12:                               ;   in Loop: Header=BB2_15 Depth=2
	s_or_b32 exec_lo, exec_lo, s31
	s_mov_b32 s5, exec_lo
	s_orn2_b32 s50, s33, exec_lo
	s_xor_b32 s33, exec_lo, -1
	s_orn2_b32 s31, s51, exec_lo
.LBB2_13:                               ;   in Loop: Header=BB2_15 Depth=2
	s_or_b32 exec_lo, exec_lo, s30
	s_andn2_b32 s22, s22, exec_lo
	s_and_b32 s30, s50, exec_lo
	s_andn2_b32 s21, s21, exec_lo
	s_or_b32 s22, s22, s30
	s_and_b32 s30, s33, exec_lo
	s_andn2_b32 s23, s23, exec_lo
	s_or_b32 s21, s21, s30
	s_and_b32 s5, s5, exec_lo
	s_andn2_b32 s20, s20, exec_lo
	s_and_b32 s30, s31, exec_lo
	s_andn2_b32 s19, s19, exec_lo
	s_or_b32 s23, s23, s5
	s_or_b32 s20, s20, s30
.LBB2_14:                               ;   in Loop: Header=BB2_15 Depth=2
	s_or_b32 exec_lo, exec_lo, s24
	s_xor_b32 s5, s22, -1
	s_and_b32 s24, exec_lo, s20
	s_or_b32 s17, s24, s17
	s_andn2_b32 s14, s14, exec_lo
	s_and_b32 s24, s19, exec_lo
	s_andn2_b32 s13, s13, exec_lo
	s_and_b32 s30, s21, exec_lo
	s_or_b32 s14, s14, s24
	s_andn2_b32 s16, s16, exec_lo
	s_and_b32 s24, s23, exec_lo
	s_andn2_b32 s18, s18, exec_lo
	s_and_b32 s5, s5, exec_lo
	s_or_b32 s13, s13, s30
	s_or_b32 s16, s16, s24
	;; [unrolled: 1-line block ×3, first 2 shown]
	s_andn2_b32 exec_lo, exec_lo, s17
	s_cbranch_execz .LBB2_19
.LBB2_15:                               ;   Parent Loop BB2_10 Depth=1
                                        ; =>  This Inner Loop Header: Depth=2
	s_or_b32 s22, s22, exec_lo
	s_or_b32 s19, s19, exec_lo
	s_andn2_b32 s21, s21, exec_lo
	s_andn2_b32 s23, s23, exec_lo
	s_or_b32 s20, s20, exec_lo
	s_mov_b32 s24, exec_lo
	v_cmpx_lt_i32_e32 -1, v0
	s_cbranch_execz .LBB2_14
; %bb.16:                               ;   in Loop: Header=BB2_15 Depth=2
	s_mov_b32 s5, 0
	s_mov_b32 s31, -1
	s_mov_b32 s33, -1
	;; [unrolled: 1-line block ×3, first 2 shown]
	s_and_saveexec_b32 s30, vcc_lo
	s_cbranch_execz .LBB2_13
; %bb.17:                               ;   in Loop: Header=BB2_15 Depth=2
	s_mov_b32 s51, -1
	s_and_saveexec_b32 s31, s4
	s_cbranch_execz .LBB2_12
; %bb.18:                               ;   in Loop: Header=BB2_15 Depth=2
	v_ashrrev_i32_e32 v1, 31, v0
	s_xor_b32 s33, exec_lo, -1
	v_lshlrev_b64 v[8:9], 2, v[0:1]
	v_add_nc_u32_e32 v0, s46, v0
	v_add_co_u32 v8, s5, v5, v8
	v_add_co_ci_u32_e64 v9, null, v6, v9, s5
	v_cmp_le_i32_e64 s5, s29, v0
	global_load_dword v1, v[8:9], off
	s_orn2_b32 s51, s5, exec_lo
	s_waitcnt vmcnt(0)
	ds_write_b32 v7, v1
	v_add_nc_u32_e32 v7, s11, v7
	s_branch .LBB2_12
.LBB2_19:                               ;   in Loop: Header=BB2_10 Depth=1
	s_or_b32 exec_lo, exec_lo, s17
	s_orn2_b32 s4, s18, exec_lo
.LBB2_20:                               ;   in Loop: Header=BB2_10 Depth=1
	s_or_b32 exec_lo, exec_lo, s15
	s_andn2_b32 s12, s12, exec_lo
	s_and_b32 s15, s16, exec_lo
	s_mov_b32 s5, -1
	s_or_b32 s12, s12, s15
	s_and_saveexec_b32 s15, s4
	s_cbranch_execz .LBB2_9
; %bb.21:                               ;   in Loop: Header=BB2_10 Depth=1
	v_add_nc_u32_e32 v4, s28, v4
	v_add_nc_u32_e32 v2, s28, v2
	s_andn2_b32 s12, s12, exec_lo
	s_andn2_b32 s13, s13, exec_lo
	;; [unrolled: 1-line block ×3, first 2 shown]
	v_cmp_le_i32_e32 vcc_lo, s29, v4
	s_orn2_b32 s5, vcc_lo, exec_lo
	s_branch .LBB2_9
.LBB2_22:
	s_cbranch_execnz .LBB2_113
	s_branch .LBB2_114
.LBB2_23:
	s_cbranch_execnz .LBB2_111
	s_branch .LBB2_112
.LBB2_24:
	s_cbranch_execnz .LBB2_109
	s_branch .LBB2_110
.LBB2_25:
	s_mov_b32 s4, 0
	s_and_b32 vcc_lo, exec_lo, s5
	s_mov_b32 s50, 0
	s_cbranch_vccnz .LBB2_38
	s_branch .LBB2_51
.LBB2_26:
	s_or_b32 exec_lo, exec_lo, s8
	s_mov_b32 s51, 0
	s_mov_b32 s54, s47
	s_and_saveexec_b32 s4, s9
	s_xor_b32 s50, exec_lo, s4
	s_cbranch_execz .LBB2_34
; %bb.27:
	s_mov_b32 s53, 0
	s_mov_b32 s54, s47
	s_and_saveexec_b32 s4, s7
	s_xor_b32 s51, exec_lo, s4
	s_cbranch_execz .LBB2_31
; %bb.28:
	s_mov_b32 s4, -1
	s_mov_b32 s5, s47
	s_and_saveexec_b32 s7, s6
	s_xor_b32 s53, exec_lo, s7
	s_cbranch_execz .LBB2_30
; %bb.29:
	s_add_u32 s8, s26, 48
	s_addc_u32 s9, s27, 0
	s_getpc_b64 s[4:5]
	s_add_u32 s4, s4, .str.10@rel32@lo+4
	s_addc_u32 s5, s5, .str.10@rel32@hi+12
	s_getpc_b64 s[6:7]
	s_add_u32 s6, s6, __PRETTY_FUNCTION__._ZN9rocsolver6v33100L9idx_lowerIiEET_S2_S2_S2_@rel32@lo+4
	s_addc_u32 s7, s7, __PRETTY_FUNCTION__._ZN9rocsolver6v33100L9idx_lowerIiEET_S2_S2_S2_@rel32@hi+12
	v_mov_b32_e32 v0, s4
	v_mov_b32_e32 v1, s5
	;; [unrolled: 1-line block ×5, first 2 shown]
	s_getpc_b64 s[10:11]
	s_add_u32 s10, s10, __assert_fail@rel32@lo+4
	s_addc_u32 s11, s11, __assert_fail@rel32@hi+12
	s_swappc_b64 s[30:31], s[10:11]
	s_or_b32 s5, s47, exec_lo
	s_xor_b32 s4, exec_lo, -1
.LBB2_30:
	s_or_b32 exec_lo, exec_lo, s53
	s_andn2_b32 s6, s47, exec_lo
	s_and_b32 s5, s5, exec_lo
	s_and_b32 s53, s4, exec_lo
	s_or_b32 s54, s6, s5
.LBB2_31:
	s_andn2_saveexec_b32 s51, s51
	s_cbranch_execz .LBB2_33
; %bb.32:
	s_add_u32 s8, s26, 48
	s_addc_u32 s9, s27, 0
	s_getpc_b64 s[4:5]
	s_add_u32 s4, s4, .str.9@rel32@lo+4
	s_addc_u32 s5, s5, .str.9@rel32@hi+12
	s_getpc_b64 s[6:7]
	s_add_u32 s6, s6, __PRETTY_FUNCTION__._ZN9rocsolver6v33100L9idx_lowerIiEET_S2_S2_S2_@rel32@lo+4
	s_addc_u32 s7, s7, __PRETTY_FUNCTION__._ZN9rocsolver6v33100L9idx_lowerIiEET_S2_S2_S2_@rel32@hi+12
	v_mov_b32_e32 v0, s4
	v_mov_b32_e32 v1, s5
	;; [unrolled: 1-line block ×5, first 2 shown]
	s_getpc_b64 s[10:11]
	s_add_u32 s10, s10, __assert_fail@rel32@lo+4
	s_addc_u32 s11, s11, __assert_fail@rel32@hi+12
	s_swappc_b64 s[30:31], s[10:11]
	s_or_b32 s54, s54, exec_lo
.LBB2_33:
	s_or_b32 exec_lo, exec_lo, s51
	s_andn2_b32 s4, s47, exec_lo
	s_and_b32 s5, s54, exec_lo
	s_and_b32 s51, s53, exec_lo
	s_or_b32 s54, s4, s5
.LBB2_34:
	s_andn2_saveexec_b32 s50, s50
	s_cbranch_execz .LBB2_36
; %bb.35:
	s_add_u32 s8, s26, 48
	s_addc_u32 s9, s27, 0
	s_getpc_b64 s[4:5]
	s_add_u32 s4, s4, .str.8@rel32@lo+4
	s_addc_u32 s5, s5, .str.8@rel32@hi+12
	s_getpc_b64 s[6:7]
	s_add_u32 s6, s6, __PRETTY_FUNCTION__._ZN9rocsolver6v33100L9idx_lowerIiEET_S2_S2_S2_@rel32@lo+4
	s_addc_u32 s7, s7, __PRETTY_FUNCTION__._ZN9rocsolver6v33100L9idx_lowerIiEET_S2_S2_S2_@rel32@hi+12
	v_mov_b32_e32 v0, s4
	v_mov_b32_e32 v1, s5
	;; [unrolled: 1-line block ×5, first 2 shown]
	s_getpc_b64 s[10:11]
	s_add_u32 s10, s10, __assert_fail@rel32@lo+4
	s_addc_u32 s11, s11, __assert_fail@rel32@hi+12
	s_swappc_b64 s[30:31], s[10:11]
	s_or_b32 s54, s54, exec_lo
.LBB2_36:
	s_or_b32 exec_lo, exec_lo, s50
	s_andn2_b32 s4, s47, exec_lo
	s_and_b32 s5, s54, exec_lo
	s_or_b32 s47, s4, s5
	s_orn2_b32 s4, s51, exec_lo
.LBB2_37:
	s_or_b32 exec_lo, exec_lo, s35
	s_mov_b32 s50, 0
	s_branch .LBB2_51
.LBB2_38:
	s_mov_b32 s4, -1
	s_and_saveexec_b32 s5, s25
	s_cbranch_execz .LBB2_50
; %bb.39:
	v_lshlrev_b32_e32 v0, 2, v41
	v_lshlrev_b32_e32 v1, 2, v42
	s_lshl_b32 s8, s46, 2
	s_lshl_b32 s4, s29, 1
	s_ashr_i32 s35, s34, 31
	s_lshl_b32 s9, s28, 2
	v_sub_nc_u32_e32 v0, v0, v1
	s_sub_i32 s10, 0, s8
	v_sub_nc_u32_e32 v2, s4, v42
	s_add_u32 s4, s40, s38
	s_addc_u32 s6, s41, s39
	s_add_u32 s4, s36, s4
	v_add_nc_u32_e32 v5, 0, v0
	s_addc_u32 s6, s37, s6
	v_add_co_u32 v0, s4, s4, v1
	v_add_nc_u32_e32 v4, 1, v2
	v_add_co_ci_u32_e64 v1, null, s6, 0, s4
	v_mov_b32_e32 v6, v41
	s_mov_b32 s11, 0
	s_lshl_b64 s[6:7], s[34:35], 2
                                        ; implicit-def: $sgpr12
	s_branch .LBB2_41
.LBB2_40:                               ;   in Loop: Header=BB2_41 Depth=1
	s_or_b32 exec_lo, exec_lo, s14
	s_xor_b32 s13, s13, -1
	s_and_b32 s4, exec_lo, s4
	s_or_b32 s11, s4, s11
	s_andn2_b32 s4, s12, exec_lo
	s_and_b32 s12, s13, exec_lo
	s_or_b32 s12, s4, s12
	s_andn2_b32 exec_lo, exec_lo, s11
	s_cbranch_execz .LBB2_49
.LBB2_41:                               ; =>This Loop Header: Depth=1
                                        ;     Child Loop BB2_44 Depth 2
	s_mov_b32 s15, -1
	s_mov_b32 s13, exec_lo
	v_cmpx_le_i32_e64 v42, v6
	s_cbranch_execz .LBB2_47
; %bb.42:                               ;   in Loop: Header=BB2_41 Depth=1
	v_mad_u64_u32 v[2:3], null, s6, v6, v[0:1]
	v_mov_b32_e32 v7, v4
	v_mov_b32_e32 v8, v5
	s_mov_b32 s14, 0
                                        ; implicit-def: $sgpr15
                                        ; implicit-def: $sgpr17
                                        ; implicit-def: $sgpr16
	v_mad_u64_u32 v[9:10], null, s7, v6, v[3:4]
	v_mov_b32_e32 v3, v9
	v_mov_b32_e32 v9, v42
	s_inst_prefetch 0x1
	s_branch .LBB2_44
	.p2align	6
.LBB2_43:                               ;   in Loop: Header=BB2_44 Depth=2
	s_or_b32 exec_lo, exec_lo, s18
	s_xor_b32 s4, s16, -1
	s_and_b32 s18, exec_lo, s17
	s_or_b32 s14, s18, s14
	s_andn2_b32 s15, s15, exec_lo
	s_and_b32 s4, s4, exec_lo
	s_or_b32 s15, s15, s4
	s_andn2_b32 exec_lo, exec_lo, s14
	s_cbranch_execz .LBB2_46
.LBB2_44:                               ;   Parent Loop BB2_41 Depth=1
                                        ; =>  This Inner Loop Header: Depth=2
	s_or_b32 s16, s16, exec_lo
	s_or_b32 s17, s17, exec_lo
	s_mov_b32 s18, exec_lo
	v_cmpx_lt_i32_e32 -1, v9
	s_cbranch_execz .LBB2_43
; %bb.45:                               ;   in Loop: Header=BB2_44 Depth=2
	global_load_dword v10, v[2:3], off
	v_mul_lo_u32 v11, v7, v9
	v_add_nc_u32_e32 v9, s46, v9
	v_add_co_u32 v2, s4, v2, s8
	v_subrev_nc_u32_e32 v7, s46, v7
	v_add_co_ci_u32_e64 v3, null, 0, v3, s4
	v_cmp_gt_i32_e32 vcc_lo, v9, v6
	v_lshrrev_b32_e32 v12, 31, v11
	s_andn2_b32 s4, s17, exec_lo
	s_andn2_b32 s16, s16, exec_lo
	s_and_b32 s17, vcc_lo, exec_lo
	v_add_lshl_u32 v11, v11, v12, 1
	s_or_b32 s17, s4, s17
	v_and_b32_e32 v11, -4, v11
	v_add_nc_u32_e32 v11, v8, v11
	v_add_nc_u32_e32 v8, s10, v8
	s_waitcnt vmcnt(0)
	ds_write_b32 v11, v10
	s_branch .LBB2_43
.LBB2_46:                               ;   in Loop: Header=BB2_41 Depth=1
	s_inst_prefetch 0x2
	s_or_b32 exec_lo, exec_lo, s14
	s_orn2_b32 s15, s15, exec_lo
.LBB2_47:                               ;   in Loop: Header=BB2_41 Depth=1
	s_or_b32 exec_lo, exec_lo, s13
	s_mov_b32 s4, -1
	s_mov_b32 s13, -1
	s_and_saveexec_b32 s14, s15
	s_cbranch_execz .LBB2_40
; %bb.48:                               ;   in Loop: Header=BB2_41 Depth=1
	v_add_nc_u32_e32 v6, s28, v6
	v_add_nc_u32_e32 v5, s9, v5
	s_xor_b32 s13, exec_lo, -1
	v_cmp_le_i32_e32 vcc_lo, s29, v6
	s_orn2_b32 s4, vcc_lo, exec_lo
	s_branch .LBB2_40
.LBB2_49:
	s_or_b32 exec_lo, exec_lo, s11
	s_mov_b32 s50, exec_lo
	s_orn2_b32 s4, s12, exec_lo
.LBB2_50:
	s_or_b32 exec_lo, exec_lo, s5
.LBB2_51:
	s_and_saveexec_b32 s51, s4
	s_cbranch_execz .LBB2_106
; %bb.52:
	s_cmp_gt_i32 s29, 0
	s_mov_b32 s8, 0
	s_waitcnt lgkmcnt(0)
	s_waitcnt_vscnt null, 0x0
	s_barrier
	buffer_gl0_inv
	s_cbranch_scc0 .LBB2_94
; %bb.53:
	s_mul_i32 s9, s28, s46
	v_mul_u32_u24_e32 v2, s46, v41
	v_mul_lo_u32 v1, s9, v43
	s_lshl_b64 s[4:5], s[44:45], 2
	v_lshlrev_b32_e32 v3, 2, v41
	s_add_u32 s6, s42, s4
	s_addc_u32 s7, s43, s5
	s_lshl_b32 s4, s29, 1
	v_lshl_add_u32 v0, v42, 2, 0
	s_or_b32 s13, s4, 1
	v_add3_u32 v1, v2, v42, v1
	v_sub_nc_u32_e32 v2, 0, v3
	v_mov_b32_e32 v3, 0
	s_lshl_b32 s12, s9, 2
	s_lshl_b32 s14, s46, 2
	v_cmp_eq_u32_e64 s4, 0, v1
	s_lshl_b32 s15, s28, 2
	s_mov_b32 s17, 0
                                        ; implicit-def: $sgpr16
                                        ; implicit-def: $sgpr11
                                        ; implicit-def: $sgpr10
	s_branch .LBB2_55
.LBB2_54:                               ;   in Loop: Header=BB2_55 Depth=1
	s_or_b32 exec_lo, exec_lo, s21
	s_xor_b32 s18, s30, -1
	s_xor_b32 s19, s23, -1
	;; [unrolled: 1-line block ×3, first 2 shown]
	s_and_b32 s5, exec_lo, s5
	s_or_b32 s8, s5, s8
	s_andn2_b32 s5, s10, exec_lo
	s_and_b32 s10, s18, exec_lo
	s_andn2_b32 s16, s16, exec_lo
	s_or_b32 s10, s5, s10
	s_andn2_b32 s5, s11, exec_lo
	s_and_b32 s11, s19, exec_lo
	s_and_b32 s18, s20, exec_lo
	s_or_b32 s11, s5, s11
	s_or_b32 s16, s16, s18
	s_andn2_b32 exec_lo, exec_lo, s8
	s_cbranch_execz .LBB2_89
.LBB2_55:                               ; =>This Loop Header: Depth=1
                                        ;     Child Loop BB2_67 Depth 2
                                        ;     Child Loop BB2_77 Depth 2
                                        ;       Child Loop BB2_81 Depth 3
	s_sub_i32 s5, s13, s17
	s_mov_b32 s19, 0
	s_mul_i32 s5, s5, s17
	s_lshr_b32 s18, s5, 31
	s_add_i32 s5, s5, s18
	s_ashr_i32 s30, s5, 1
	s_mov_b32 s5, -1
	s_lshl_b32 s21, s30, 2
	s_add_i32 s22, s21, 0
	v_mov_b32_e32 v4, s22
	ds_read_b32 v4, v4
	s_waitcnt lgkmcnt(0)
	v_cmp_class_f32_e64 s18, v4, 0x180
	s_and_b32 vcc_lo, exec_lo, s18
	s_cbranch_vccnz .LBB2_60
; %bb.56:                               ;   in Loop: Header=BB2_55 Depth=1
	s_and_saveexec_b32 s5, s4
	s_cbranch_execz .LBB2_59
; %bb.57:                               ;   in Loop: Header=BB2_55 Depth=1
	global_load_dword v5, v3, s[6:7]
	s_waitcnt vmcnt(0)
	v_cmp_ne_u32_e32 vcc_lo, 0, v5
	s_cbranch_vccnz .LBB2_59
; %bb.58:                               ;   in Loop: Header=BB2_55 Depth=1
	s_add_i32 s19, s17, 1
	v_mov_b32_e32 v5, s19
	global_store_dword v3, v5, s[6:7]
.LBB2_59:                               ;   in Loop: Header=BB2_55 Depth=1
	s_or_b32 exec_lo, exec_lo, s5
	s_mov_b32 s5, 0
	s_mov_b32 s19, -1
.LBB2_60:                               ;   in Loop: Header=BB2_55 Depth=1
	s_andn2_b32 vcc_lo, exec_lo, s5
	s_cbranch_vccnz .LBB2_70
; %bb.61:                               ;   in Loop: Header=BB2_55 Depth=1
	v_mul_f32_e32 v5, 0x4f800000, v4
	v_cmp_gt_f32_e32 vcc_lo, 0xf800000, v4
	v_cndmask_b32_e32 v4, v4, v5, vcc_lo
	v_sqrt_f32_e32 v5, v4
	v_add_nc_u32_e32 v6, -1, v5
	v_add_nc_u32_e32 v7, 1, v5
	v_fma_f32 v8, -v6, v5, v4
	v_fma_f32 v9, -v7, v5, v4
	v_cmp_ge_f32_e64 s5, 0, v8
	v_cndmask_b32_e64 v5, v5, v6, s5
	v_cmp_lt_f32_e64 s5, 0, v9
	v_cndmask_b32_e64 v5, v5, v7, s5
	v_mul_f32_e32 v6, 0x37800000, v5
	v_cndmask_b32_e32 v5, v5, v6, vcc_lo
	v_cmp_class_f32_e64 vcc_lo, v4, 0x260
	v_cndmask_b32_e32 v4, v5, v4, vcc_lo
	s_and_saveexec_b32 s5, s4
; %bb.62:                               ;   in Loop: Header=BB2_55 Depth=1
	v_mov_b32_e32 v5, s22
	ds_write_b32 v5, v4
; %bb.63:                               ;   in Loop: Header=BB2_55 Depth=1
	s_or_b32 exec_lo, exec_lo, s5
	s_add_i32 s5, s17, 1
	s_mov_b32 s31, -1
	v_add_nc_u32_e32 v5, s5, v1
	s_mov_b32 s24, exec_lo
	s_waitcnt lgkmcnt(0)
	s_waitcnt_vscnt null, 0x0
	s_barrier
	buffer_gl0_inv
                                        ; implicit-def: $sgpr20
                                        ; implicit-def: $sgpr23
	v_cmpx_gt_i32_e64 s29, v5
	s_cbranch_execz .LBB2_72
; %bb.64:                               ;   in Loop: Header=BB2_55 Depth=1
	v_add_lshl_u32 v6, v1, s30, 2
	s_mov_b32 s30, 0
                                        ; implicit-def: $sgpr31
                                        ; implicit-def: $sgpr23
                                        ; implicit-def: $sgpr20
                                        ; implicit-def: $sgpr42
                                        ; implicit-def: $sgpr33
                                        ; implicit-def: $sgpr35
                                        ; implicit-def: $sgpr43
	v_add3_u32 v6, 0, 4, v6
	s_branch .LBB2_67
.LBB2_65:                               ;   in Loop: Header=BB2_67 Depth=2
	s_or_b32 exec_lo, exec_lo, s45
	s_andn2_b32 s43, s43, exec_lo
	s_and_b32 s45, s54, exec_lo
	s_andn2_b32 s42, s42, exec_lo
	s_or_b32 s43, s43, s45
	s_and_b32 s45, s53, exec_lo
	s_andn2_b32 s35, s35, exec_lo
	s_or_b32 s33, s33, exec_lo
	s_or_b32 s42, s42, s45
.LBB2_66:                               ;   in Loop: Header=BB2_67 Depth=2
	s_or_b32 exec_lo, exec_lo, s44
	s_xor_b32 s44, s43, -1
	s_and_b32 s45, exec_lo, s42
	s_or_b32 s30, s45, s30
	s_andn2_b32 s20, s20, exec_lo
	s_and_b32 s45, s35, exec_lo
	s_andn2_b32 s23, s23, exec_lo
	s_or_b32 s20, s20, s45
	s_and_b32 s45, s33, exec_lo
	s_andn2_b32 s31, s31, exec_lo
	s_and_b32 s44, s44, exec_lo
	s_or_b32 s23, s23, s45
	s_or_b32 s31, s31, s44
	s_andn2_b32 exec_lo, exec_lo, s30
	s_cbranch_execz .LBB2_71
.LBB2_67:                               ;   Parent Loop BB2_55 Depth=1
                                        ; =>  This Inner Loop Header: Depth=2
	s_or_b32 s43, s43, exec_lo
	s_or_b32 s35, s35, exec_lo
	s_andn2_b32 s33, s33, exec_lo
	s_or_b32 s42, s42, exec_lo
	s_mov_b32 s44, exec_lo
	v_cmpx_lt_i32_e32 -1, v5
	s_cbranch_execz .LBB2_66
; %bb.68:                               ;   in Loop: Header=BB2_67 Depth=2
	s_mov_b32 s53, -1
	s_mov_b32 s54, -1
	s_mov_b32 s45, exec_lo
	v_cmpx_le_u32_e64 s17, v5
	s_cbranch_execz .LBB2_65
; %bb.69:                               ;   in Loop: Header=BB2_67 Depth=2
	ds_read_b32 v7, v6
	v_add_nc_u32_e32 v5, s9, v5
	s_xor_b32 s54, exec_lo, -1
	s_waitcnt lgkmcnt(0)
	v_div_scale_f32 v8, null, v4, v4, v7
	v_div_scale_f32 v11, vcc_lo, v7, v4, v7
	v_rcp_f32_e32 v9, v8
	v_fma_f32 v10, -v8, v9, 1.0
	v_fmac_f32_e32 v9, v10, v9
	v_mul_f32_e32 v10, v11, v9
	v_fma_f32 v12, -v8, v10, v11
	v_fmac_f32_e32 v10, v12, v9
	v_fma_f32 v8, -v8, v10, v11
	v_div_fmas_f32 v8, v8, v9, v10
	v_cmp_le_i32_e32 vcc_lo, s29, v5
	v_div_fixup_f32 v7, v8, v4, v7
	s_orn2_b32 s53, vcc_lo, exec_lo
	ds_write_b32 v6, v7
	v_add_nc_u32_e32 v6, s12, v6
	s_branch .LBB2_65
.LBB2_70:                               ;   in Loop: Header=BB2_55 Depth=1
                                        ; implicit-def: $sgpr20
                                        ; implicit-def: $sgpr23
                                        ; implicit-def: $sgpr30
	s_mov_b32 s5, -1
	s_and_saveexec_b32 s21, s19
	s_cbranch_execz .LBB2_54
	s_branch .LBB2_88
.LBB2_71:                               ;   in Loop: Header=BB2_55 Depth=1
	s_or_b32 exec_lo, exec_lo, s30
	s_orn2_b32 s31, s31, exec_lo
.LBB2_72:                               ;   in Loop: Header=BB2_55 Depth=1
	s_or_b32 exec_lo, exec_lo, s24
	s_mov_b32 s30, 0
	s_and_saveexec_b32 s24, s31
	s_xor_b32 s24, exec_lo, s24
	s_cbranch_execz .LBB2_87
; %bb.73:                               ;   in Loop: Header=BB2_55 Depth=1
	v_add_nc_u32_e32 v4, s5, v41
	s_mov_b32 s31, -1
	s_mov_b32 s30, exec_lo
	s_waitcnt lgkmcnt(0)
	s_barrier
	buffer_gl0_inv
	v_cmpx_gt_i32_e64 s29, v4
	s_cbranch_execz .LBB2_84
; %bb.74:                               ;   in Loop: Header=BB2_55 Depth=1
	v_add_nc_u32_e32 v5, s5, v42
	v_mov_b32_e32 v6, v2
	s_mov_b32 s31, 0
                                        ; implicit-def: $sgpr33
                                        ; implicit-def: $sgpr42
                                        ; implicit-def: $sgpr35
	v_cmp_gt_i32_e32 vcc_lo, s29, v5
	s_branch .LBB2_77
.LBB2_75:                               ;   in Loop: Header=BB2_77 Depth=2
	s_or_b32 exec_lo, exec_lo, s44
	v_add_nc_u32_e32 v4, s28, v4
	v_subrev_nc_u32_e32 v6, s15, v6
	s_andn2_b32 s42, s42, exec_lo
	s_andn2_b32 s35, s35, exec_lo
	v_cmp_le_i32_e64 s5, s29, v4
	s_and_b32 s5, s5, exec_lo
	s_or_b32 s42, s42, s5
.LBB2_76:                               ;   in Loop: Header=BB2_77 Depth=2
	s_or_b32 exec_lo, exec_lo, s43
	s_xor_b32 s5, s35, -1
	s_and_b32 s43, exec_lo, s42
	s_or_b32 s31, s43, s31
	s_andn2_b32 s33, s33, exec_lo
	s_and_b32 s5, s5, exec_lo
	s_or_b32 s33, s33, s5
	s_andn2_b32 exec_lo, exec_lo, s31
	s_cbranch_execz .LBB2_83
.LBB2_77:                               ;   Parent Loop BB2_55 Depth=1
                                        ; =>  This Loop Header: Depth=2
                                        ;       Child Loop BB2_81 Depth 3
	s_or_b32 s35, s35, exec_lo
	s_or_b32 s42, s42, exec_lo
	s_mov_b32 s43, exec_lo
	v_cmpx_lt_i32_e32 -1, v4
	s_cbranch_execz .LBB2_76
; %bb.78:                               ;   in Loop: Header=BB2_77 Depth=2
	s_and_saveexec_b32 s44, vcc_lo
	s_cbranch_execz .LBB2_75
; %bb.79:                               ;   in Loop: Header=BB2_77 Depth=2
	s_waitcnt lgkmcnt(0)
	v_sub_nc_u32_e32 v7, s13, v4
	v_subrev_nc_u32_e32 v8, s17, v4
	v_mov_b32_e32 v10, v5
	s_mov_b32 s45, 0
	v_mul_lo_u32 v9, v7, v4
	v_lshl_add_u32 v7, v8, 2, s22
	ds_read_b32 v7, v7
	v_lshrrev_b32_e32 v8, 31, v9
	v_add_lshl_u32 v8, v9, v8, 1
	v_and_b32_e32 v9, -4, v8
	v_mov_b32_e32 v8, v0
	v_add_nc_u32_e32 v9, v6, v9
	s_branch .LBB2_81
	.p2align	6
.LBB2_80:                               ;   in Loop: Header=BB2_81 Depth=3
	s_or_b32 exec_lo, exec_lo, s53
	v_add_nc_u32_e32 v10, s46, v10
	v_add_nc_u32_e32 v8, s14, v8
	v_cmp_le_i32_e64 s5, s29, v10
	s_or_b32 s45, s5, s45
	s_andn2_b32 exec_lo, exec_lo, s45
	s_cbranch_execz .LBB2_75
.LBB2_81:                               ;   Parent Loop BB2_55 Depth=1
                                        ;     Parent Loop BB2_77 Depth=2
                                        ; =>    This Inner Loop Header: Depth=3
	s_mov_b32 s53, exec_lo
	v_cmpx_ge_i32_e64 v10, v4
	s_cbranch_execz .LBB2_80
; %bb.82:                               ;   in Loop: Header=BB2_81 Depth=3
	v_add_nc_u32_e32 v11, s21, v8
	v_add_nc_u32_e32 v12, v8, v9
	ds_read_b32 v11, v11 offset:4
	ds_read_b32 v13, v12
	s_waitcnt lgkmcnt(0)
	v_fma_f32 v11, -v7, v11, v13
	ds_write_b32 v12, v11
	s_branch .LBB2_80
.LBB2_83:                               ;   in Loop: Header=BB2_55 Depth=1
	s_or_b32 exec_lo, exec_lo, s31
	s_orn2_b32 s31, s33, exec_lo
.LBB2_84:                               ;   in Loop: Header=BB2_55 Depth=1
	s_or_b32 exec_lo, exec_lo, s30
	s_mov_b32 s5, s19
	s_and_saveexec_b32 s21, s31
	s_cbranch_execz .LBB2_86
; %bb.85:                               ;   in Loop: Header=BB2_55 Depth=1
	s_or_b32 s5, s19, exec_lo
	s_waitcnt lgkmcnt(0)
	s_barrier
	buffer_gl0_inv
.LBB2_86:                               ;   in Loop: Header=BB2_55 Depth=1
	s_or_b32 exec_lo, exec_lo, s21
	s_andn2_b32 s19, s19, exec_lo
	s_and_b32 s5, s5, exec_lo
	s_mov_b32 s30, exec_lo
	s_andn2_b32 s23, s23, exec_lo
	s_andn2_b32 s20, s20, exec_lo
	s_or_b32 s19, s19, s5
.LBB2_87:                               ;   in Loop: Header=BB2_55 Depth=1
	s_or_b32 exec_lo, exec_lo, s24
	s_mov_b32 s5, -1
	s_and_saveexec_b32 s21, s19
	s_cbranch_execz .LBB2_54
.LBB2_88:                               ;   in Loop: Header=BB2_55 Depth=1
	s_add_i32 s17, s17, 1
	s_cmp_eq_u32 s17, s29
	s_cselect_b32 s5, -1, 0
	s_xor_b32 s18, s18, -1
	s_andn2_b32 s30, s30, exec_lo
	s_or_b32 s5, s18, s5
	s_andn2_b32 s23, s23, exec_lo
	s_andn2_b32 s20, s20, exec_lo
	s_orn2_b32 s5, s5, exec_lo
	s_branch .LBB2_54
.LBB2_89:
	s_or_b32 exec_lo, exec_lo, s8
	s_mov_b32 s5, 0
	s_mov_b32 s42, -1
	s_mov_b32 s44, 0
	s_mov_b32 s43, 0
	s_and_saveexec_b32 s4, s16
	s_cbranch_execz .LBB2_93
; %bb.90:
	s_mov_b32 s7, -1
	s_mov_b32 s6, 0
	s_and_saveexec_b32 s8, s11
	s_xor_b32 s8, exec_lo, s8
; %bb.91:
	s_mov_b32 s6, exec_lo
	s_xor_b32 s7, exec_lo, -1
	s_and_b32 s5, s10, exec_lo
; %bb.92:
	s_or_b32 exec_lo, exec_lo, s8
	s_xor_b32 s42, exec_lo, -1
	s_and_b32 s43, s7, exec_lo
	s_and_b32 s44, s6, exec_lo
	;; [unrolled: 1-line block ×3, first 2 shown]
.LBB2_93:
	s_or_b32 exec_lo, exec_lo, s4
	s_mov_b32 s35, s47
	s_and_saveexec_b32 s45, s5
	s_cbranch_execnz .LBB2_95
	s_branch .LBB2_101
.LBB2_94:
	s_mov_b32 s5, -1
	s_mov_b32 s44, 0
	s_mov_b32 s43, 0
	;; [unrolled: 1-line block ×4, first 2 shown]
	s_and_saveexec_b32 s45, s5
	s_cbranch_execz .LBB2_101
.LBB2_95:
	s_mov_b32 s5, -1
	s_mov_b32 s35, 0
	s_and_b32 vcc_lo, exec_lo, s52
	s_mov_b32 s4, 0
	s_mov_b32 s53, s47
	s_waitcnt lgkmcnt(0)
	s_waitcnt_vscnt null, 0x0
	s_barrier
	buffer_gl0_inv
	s_cbranch_vccnz .LBB2_119
; %bb.96:
	s_and_b32 vcc_lo, exec_lo, s5
	s_cbranch_vccnz .LBB2_146
.LBB2_97:
	s_and_saveexec_b32 s5, s4
	s_cbranch_execnz .LBB2_159
.LBB2_98:
	s_or_b32 exec_lo, exec_lo, s5
	s_and_saveexec_b32 s4, s35
	s_xor_b32 s25, exec_lo, s4
	s_cbranch_execz .LBB2_100
.LBB2_99:
	s_add_u32 s8, s26, 48
	s_addc_u32 s9, s27, 0
	s_getpc_b64 s[4:5]
	s_add_u32 s4, s4, .str.9@rel32@lo+4
	s_addc_u32 s5, s5, .str.9@rel32@hi+12
	s_getpc_b64 s[6:7]
	s_add_u32 s6, s6, __PRETTY_FUNCTION__._ZN9rocsolver6v33100L9idx_lowerIiEET_S2_S2_S2_@rel32@lo+4
	s_addc_u32 s7, s7, __PRETTY_FUNCTION__._ZN9rocsolver6v33100L9idx_lowerIiEET_S2_S2_S2_@rel32@hi+12
	v_mov_b32_e32 v0, s4
	v_mov_b32_e32 v1, s5
	;; [unrolled: 1-line block ×5, first 2 shown]
	s_getpc_b64 s[10:11]
	s_add_u32 s10, s10, __assert_fail@rel32@lo+4
	s_addc_u32 s11, s11, __assert_fail@rel32@hi+12
	s_swappc_b64 s[30:31], s[10:11]
	s_or_b32 s53, s53, exec_lo
.LBB2_100:
	s_or_b32 exec_lo, exec_lo, s25
	s_andn2_b32 s4, s47, exec_lo
	s_and_b32 s5, s53, exec_lo
	s_andn2_b32 s44, s44, exec_lo
	s_or_b32 s35, s4, s5
.LBB2_101:
	s_or_b32 exec_lo, exec_lo, s45
	s_and_saveexec_b32 s4, s44
	s_xor_b32 s25, exec_lo, s4
	s_cbranch_execnz .LBB2_117
; %bb.102:
	s_or_b32 exec_lo, exec_lo, s25
	s_and_saveexec_b32 s4, s43
	s_xor_b32 s25, exec_lo, s4
	s_cbranch_execnz .LBB2_118
.LBB2_103:
	s_or_b32 exec_lo, exec_lo, s25
	s_and_saveexec_b32 s4, s42
	s_xor_b32 s25, exec_lo, s4
	s_cbranch_execz .LBB2_105
.LBB2_104:
	s_add_u32 s8, s26, 48
	s_addc_u32 s9, s27, 0
	s_getpc_b64 s[4:5]
	s_add_u32 s4, s4, .str.8@rel32@lo+4
	s_addc_u32 s5, s5, .str.8@rel32@hi+12
	s_getpc_b64 s[6:7]
	s_add_u32 s6, s6, __PRETTY_FUNCTION__._ZN9rocsolver6v33100L9idx_lowerIiEET_S2_S2_S2_@rel32@lo+4
	s_addc_u32 s7, s7, __PRETTY_FUNCTION__._ZN9rocsolver6v33100L9idx_lowerIiEET_S2_S2_S2_@rel32@hi+12
	v_mov_b32_e32 v0, s4
	v_mov_b32_e32 v1, s5
	;; [unrolled: 1-line block ×5, first 2 shown]
	s_getpc_b64 s[10:11]
	s_add_u32 s10, s10, __assert_fail@rel32@lo+4
	s_addc_u32 s11, s11, __assert_fail@rel32@hi+12
	s_swappc_b64 s[30:31], s[10:11]
	s_or_b32 s35, s35, exec_lo
.LBB2_105:
	s_or_b32 exec_lo, exec_lo, s25
	s_andn2_b32 s4, s47, exec_lo
	s_and_b32 s5, s35, exec_lo
	s_andn2_b32 s50, s50, exec_lo
	s_or_b32 s47, s4, s5
.LBB2_106:
	s_or_b32 exec_lo, exec_lo, s51
	s_and_saveexec_b32 s4, s50
	s_xor_b32 s25, exec_lo, s4
	s_cbranch_execz .LBB2_108
; %bb.107:
	s_add_u32 s8, s26, 48
	s_addc_u32 s9, s27, 0
	s_getpc_b64 s[4:5]
	s_add_u32 s4, s4, .str.9@rel32@lo+4
	s_addc_u32 s5, s5, .str.9@rel32@hi+12
	s_getpc_b64 s[6:7]
	s_add_u32 s6, s6, __PRETTY_FUNCTION__._ZN9rocsolver6v33100L9idx_lowerIiEET_S2_S2_S2_@rel32@lo+4
	s_addc_u32 s7, s7, __PRETTY_FUNCTION__._ZN9rocsolver6v33100L9idx_lowerIiEET_S2_S2_S2_@rel32@hi+12
	v_mov_b32_e32 v0, s4
	v_mov_b32_e32 v1, s5
	;; [unrolled: 1-line block ×5, first 2 shown]
	s_getpc_b64 s[10:11]
	s_add_u32 s10, s10, __assert_fail@rel32@lo+4
	s_addc_u32 s11, s11, __assert_fail@rel32@hi+12
	s_swappc_b64 s[30:31], s[10:11]
	s_or_b32 s47, s47, exec_lo
.LBB2_108:
	s_or_b32 exec_lo, exec_lo, s25
	s_branch .LBB2_110
.LBB2_109:
	s_add_u32 s8, s26, 48
	s_addc_u32 s9, s27, 0
	s_getpc_b64 s[4:5]
	s_add_u32 s4, s4, .str.4@rel32@lo+4
	s_addc_u32 s5, s5, .str.4@rel32@hi+12
	s_getpc_b64 s[6:7]
	s_add_u32 s6, s6, __PRETTY_FUNCTION__._ZN9rocsolver6v33100L18potf2_kernel_smallIfiiPfEEvbT0_T2_lS3_lPT1_@rel32@lo+4
	s_addc_u32 s7, s7, __PRETTY_FUNCTION__._ZN9rocsolver6v33100L18potf2_kernel_smallIfiiPfEEvbT0_T2_lS3_lPT1_@rel32@hi+12
	v_mov_b32_e32 v0, s4
	v_mov_b32_e32 v1, s5
	v_mov_b32_e32 v2, 0x131
	v_mov_b32_e32 v3, s6
	v_mov_b32_e32 v4, s7
	s_getpc_b64 s[10:11]
	s_add_u32 s10, s10, __assert_fail@rel32@lo+4
	s_addc_u32 s11, s11, __assert_fail@rel32@hi+12
	s_swappc_b64 s[30:31], s[10:11]
	s_or_b32 s47, s47, exec_lo
.LBB2_110:
	s_branch .LBB2_112
.LBB2_111:
	s_add_u32 s8, s26, 48
	s_addc_u32 s9, s27, 0
	s_getpc_b64 s[4:5]
	s_add_u32 s4, s4, .str.3@rel32@lo+4
	s_addc_u32 s5, s5, .str.3@rel32@hi+12
	s_getpc_b64 s[6:7]
	s_add_u32 s6, s6, __PRETTY_FUNCTION__._ZN9rocsolver6v33100L18potf2_kernel_smallIfiiPfEEvbT0_T2_lS3_lPT1_@rel32@lo+4
	s_addc_u32 s7, s7, __PRETTY_FUNCTION__._ZN9rocsolver6v33100L18potf2_kernel_smallIfiiPfEEvbT0_T2_lS3_lPT1_@rel32@hi+12
	v_mov_b32_e32 v0, s4
	v_mov_b32_e32 v1, s5
	;; [unrolled: 1-line block ×5, first 2 shown]
	s_getpc_b64 s[10:11]
	s_add_u32 s10, s10, __assert_fail@rel32@lo+4
	s_addc_u32 s11, s11, __assert_fail@rel32@hi+12
	s_swappc_b64 s[30:31], s[10:11]
	s_or_b32 s47, s47, exec_lo
.LBB2_112:
	s_branch .LBB2_114
.LBB2_113:
	s_add_u32 s8, s26, 48
	s_addc_u32 s9, s27, 0
	s_getpc_b64 s[4:5]
	s_add_u32 s4, s4, .str.2@rel32@lo+4
	s_addc_u32 s5, s5, .str.2@rel32@hi+12
	s_getpc_b64 s[6:7]
	s_add_u32 s6, s6, __PRETTY_FUNCTION__._ZN9rocsolver6v33100L18potf2_kernel_smallIfiiPfEEvbT0_T2_lS3_lPT1_@rel32@lo+4
	s_addc_u32 s7, s7, __PRETTY_FUNCTION__._ZN9rocsolver6v33100L18potf2_kernel_smallIfiiPfEEvbT0_T2_lS3_lPT1_@rel32@hi+12
	v_mov_b32_e32 v0, s4
	v_mov_b32_e32 v1, s5
	v_mov_b32_e32 v2, 0x12b
	v_mov_b32_e32 v3, s6
	v_mov_b32_e32 v4, s7
	s_getpc_b64 s[10:11]
	s_add_u32 s10, s10, __assert_fail@rel32@lo+4
	s_addc_u32 s11, s11, __assert_fail@rel32@hi+12
	s_swappc_b64 s[30:31], s[10:11]
	s_or_b32 s47, s47, exec_lo
.LBB2_114:
	s_and_saveexec_b32 s4, s47
; %bb.115:
	; divergent unreachable
; %bb.116:
	s_endpgm
.LBB2_117:
	s_add_u32 s8, s26, 48
	s_addc_u32 s9, s27, 0
	s_getpc_b64 s[4:5]
	s_add_u32 s4, s4, .str.8@rel32@lo+4
	s_addc_u32 s5, s5, .str.8@rel32@hi+12
	s_getpc_b64 s[6:7]
	s_add_u32 s6, s6, __PRETTY_FUNCTION__._ZN9rocsolver6v33100L9idx_lowerIiEET_S2_S2_S2_@rel32@lo+4
	s_addc_u32 s7, s7, __PRETTY_FUNCTION__._ZN9rocsolver6v33100L9idx_lowerIiEET_S2_S2_S2_@rel32@hi+12
	v_mov_b32_e32 v0, s4
	v_mov_b32_e32 v1, s5
	;; [unrolled: 1-line block ×5, first 2 shown]
	s_getpc_b64 s[10:11]
	s_add_u32 s10, s10, __assert_fail@rel32@lo+4
	s_addc_u32 s11, s11, __assert_fail@rel32@hi+12
	s_swappc_b64 s[30:31], s[10:11]
	s_or_b32 s35, s35, exec_lo
	s_or_b32 exec_lo, exec_lo, s25
	s_and_saveexec_b32 s4, s43
	s_xor_b32 s25, exec_lo, s4
	s_cbranch_execz .LBB2_103
.LBB2_118:
	s_add_u32 s8, s26, 48
	s_addc_u32 s9, s27, 0
	s_getpc_b64 s[4:5]
	s_add_u32 s4, s4, .str.10@rel32@lo+4
	s_addc_u32 s5, s5, .str.10@rel32@hi+12
	s_getpc_b64 s[6:7]
	s_add_u32 s6, s6, __PRETTY_FUNCTION__._ZN9rocsolver6v33100L9idx_lowerIiEET_S2_S2_S2_@rel32@lo+4
	s_addc_u32 s7, s7, __PRETTY_FUNCTION__._ZN9rocsolver6v33100L9idx_lowerIiEET_S2_S2_S2_@rel32@hi+12
	v_mov_b32_e32 v0, s4
	v_mov_b32_e32 v1, s5
	;; [unrolled: 1-line block ×5, first 2 shown]
	s_getpc_b64 s[10:11]
	s_add_u32 s10, s10, __assert_fail@rel32@lo+4
	s_addc_u32 s11, s11, __assert_fail@rel32@hi+12
	s_swappc_b64 s[30:31], s[10:11]
	s_or_b32 s35, s35, exec_lo
	s_or_b32 exec_lo, exec_lo, s25
	s_and_saveexec_b32 s4, s42
	s_xor_b32 s25, exec_lo, s4
	s_cbranch_execnz .LBB2_104
	s_branch .LBB2_105
.LBB2_119:
	s_mov_b32 s4, -1
	s_mov_b32 s53, s47
	s_and_saveexec_b32 s52, s25
	s_cbranch_execz .LBB2_145
; %bb.120:
	v_add_nc_u32_e32 v2, v41, v42
	v_lshl_add_u32 v3, v42, 2, 0
	v_mov_b32_e32 v4, v41
	s_lshl_b32 s4, s29, 1
	s_mov_b32 s9, 0
	s_or_b32 s11, s4, 1
	s_lshl_b32 s12, s46, 2
                                        ; implicit-def: $sgpr10
                                        ; implicit-def: $sgpr8
                                        ; implicit-def: $sgpr7
                                        ; implicit-def: $sgpr13
	s_branch .LBB2_122
.LBB2_121:                              ;   in Loop: Header=BB2_122 Depth=1
	s_or_b32 exec_lo, exec_lo, s6
	s_xor_b32 s4, s14, -1
	s_xor_b32 s6, s15, -1
	s_and_b32 s5, exec_lo, s5
	s_or_b32 s9, s5, s9
	s_andn2_b32 s5, s7, exec_lo
	s_and_b32 s7, s13, exec_lo
	s_and_b32 s4, s4, exec_lo
	s_or_b32 s7, s5, s7
	s_andn2_b32 s5, s8, exec_lo
	s_andn2_b32 s10, s10, exec_lo
	s_and_b32 s6, s6, exec_lo
	s_or_b32 s8, s5, s4
	s_or_b32 s10, s10, s6
	s_andn2_b32 exec_lo, exec_lo, s9
	s_cbranch_execz .LBB2_134
.LBB2_122:                              ; =>This Loop Header: Depth=1
                                        ;     Child Loop BB2_127 Depth 2
	v_add_nc_u32_e32 v0, v4, v42
	s_mov_b32 s4, -1
	s_mov_b32 s16, exec_lo
                                        ; implicit-def: $sgpr15
                                        ; implicit-def: $sgpr14
                                        ; implicit-def: $sgpr17
	v_cmpx_gt_i32_e64 s29, v0
	s_cbranch_execz .LBB2_132
; %bb.123:                              ;   in Loop: Header=BB2_122 Depth=1
	v_sub_nc_u32_e32 v1, s11, v4
	v_mad_i64_i32 v[5:6], null, v4, s34, 0
	s_mov_b32 s18, 0
	v_cmp_lt_i32_e32 vcc_lo, -1, v4
	v_mul_lo_u32 v1, v1, v4
                                        ; implicit-def: $sgpr19
                                        ; implicit-def: $sgpr17
                                        ; implicit-def: $sgpr14
                                        ; implicit-def: $sgpr15
                                        ; implicit-def: $sgpr21
                                        ; implicit-def: $sgpr24
                                        ; implicit-def: $sgpr22
                                        ; implicit-def: $sgpr20
                                        ; implicit-def: $sgpr23
	v_lshlrev_b64 v[5:6], 2, v[5:6]
	v_lshrrev_b32_e32 v7, 31, v1
	v_add_co_u32 v5, s4, s48, v5
	v_add_co_ci_u32_e64 v6, null, s49, v6, s4
	v_add_lshl_u32 v1, v1, v7, 1
	v_cmp_ge_u32_e64 s4, v2, v4
	v_and_b32_e32 v1, -4, v1
	v_add_nc_u32_e32 v7, v3, v1
	s_branch .LBB2_127
.LBB2_124:                              ;   in Loop: Header=BB2_127 Depth=2
	s_or_b32 exec_lo, exec_lo, s33
	s_mov_b32 s5, exec_lo
	s_orn2_b32 s53, s53, exec_lo
	s_xor_b32 s33, exec_lo, -1
	s_orn2_b32 s6, s6, exec_lo
.LBB2_125:                              ;   in Loop: Header=BB2_127 Depth=2
	s_or_b32 exec_lo, exec_lo, s31
	s_andn2_b32 s23, s23, exec_lo
	s_and_b32 s31, s53, exec_lo
	s_andn2_b32 s22, s22, exec_lo
	s_or_b32 s23, s23, s31
	s_and_b32 s31, s33, exec_lo
	s_andn2_b32 s24, s24, exec_lo
	s_and_b32 s5, s5, exec_lo
	s_andn2_b32 s21, s21, exec_lo
	;; [unrolled: 2-line block ×3, first 2 shown]
	s_or_b32 s22, s22, s31
	s_or_b32 s24, s24, s5
	;; [unrolled: 1-line block ×3, first 2 shown]
.LBB2_126:                              ;   in Loop: Header=BB2_127 Depth=2
	s_or_b32 exec_lo, exec_lo, s30
	s_xor_b32 s5, s23, -1
	s_and_b32 s6, exec_lo, s21
	s_or_b32 s18, s6, s18
	s_andn2_b32 s6, s15, exec_lo
	s_and_b32 s15, s20, exec_lo
	s_andn2_b32 s14, s14, exec_lo
	s_and_b32 s30, s22, exec_lo
	s_or_b32 s15, s6, s15
	s_andn2_b32 s6, s17, exec_lo
	s_and_b32 s17, s24, exec_lo
	s_andn2_b32 s19, s19, exec_lo
	s_and_b32 s5, s5, exec_lo
	s_or_b32 s14, s14, s30
	s_or_b32 s17, s6, s17
	;; [unrolled: 1-line block ×3, first 2 shown]
	s_andn2_b32 exec_lo, exec_lo, s18
	s_cbranch_execz .LBB2_131
.LBB2_127:                              ;   Parent Loop BB2_122 Depth=1
                                        ; =>  This Inner Loop Header: Depth=2
	s_or_b32 s23, s23, exec_lo
	s_or_b32 s20, s20, exec_lo
	s_andn2_b32 s22, s22, exec_lo
	s_andn2_b32 s24, s24, exec_lo
	s_or_b32 s21, s21, exec_lo
	s_mov_b32 s30, exec_lo
	v_cmpx_lt_i32_e32 -1, v0
	s_cbranch_execz .LBB2_126
; %bb.128:                              ;   in Loop: Header=BB2_127 Depth=2
	s_mov_b32 s5, 0
	s_mov_b32 s6, -1
	s_mov_b32 s33, -1
	;; [unrolled: 1-line block ×3, first 2 shown]
	s_and_saveexec_b32 s31, vcc_lo
	s_cbranch_execz .LBB2_125
; %bb.129:                              ;   in Loop: Header=BB2_127 Depth=2
	s_and_saveexec_b32 s33, s4
	s_cbranch_execz .LBB2_124
; %bb.130:                              ;   in Loop: Header=BB2_127 Depth=2
	ds_read_b32 v10, v7
	v_ashrrev_i32_e32 v1, 31, v0
	v_add_nc_u32_e32 v7, s12, v7
	s_xor_b32 s53, exec_lo, -1
	v_lshlrev_b64 v[8:9], 2, v[0:1]
	v_add_nc_u32_e32 v0, s46, v0
	v_cmp_le_i32_e64 s5, s29, v0
	v_add_co_u32 v8, s6, v5, v8
	v_add_co_ci_u32_e64 v9, null, v6, v9, s6
	s_orn2_b32 s6, s5, exec_lo
	s_waitcnt lgkmcnt(0)
	global_store_dword v[8:9], v10, off
	s_branch .LBB2_124
.LBB2_131:                              ;   in Loop: Header=BB2_122 Depth=1
	s_or_b32 exec_lo, exec_lo, s18
	s_orn2_b32 s4, s19, exec_lo
.LBB2_132:                              ;   in Loop: Header=BB2_122 Depth=1
	s_or_b32 exec_lo, exec_lo, s16
	s_andn2_b32 s6, s13, exec_lo
	s_and_b32 s13, s17, exec_lo
	s_mov_b32 s5, -1
	s_or_b32 s13, s6, s13
	s_and_saveexec_b32 s6, s4
	s_cbranch_execz .LBB2_121
; %bb.133:                              ;   in Loop: Header=BB2_122 Depth=1
	v_add_nc_u32_e32 v4, s28, v4
	v_add_nc_u32_e32 v2, s28, v2
	s_andn2_b32 s13, s13, exec_lo
	s_andn2_b32 s14, s14, exec_lo
	s_andn2_b32 s15, s15, exec_lo
	v_cmp_le_i32_e32 vcc_lo, s29, v4
	s_orn2_b32 s5, vcc_lo, exec_lo
	s_branch .LBB2_121
.LBB2_134:
	s_or_b32 exec_lo, exec_lo, s9
	s_mov_b32 s49, 0
	s_mov_b32 s54, s47
	s_and_saveexec_b32 s4, s10
	s_xor_b32 s48, exec_lo, s4
	s_cbranch_execz .LBB2_142
; %bb.135:
	s_mov_b32 s53, 0
	s_mov_b32 s54, s47
	s_and_saveexec_b32 s4, s8
	s_xor_b32 s49, exec_lo, s4
	s_cbranch_execz .LBB2_139
; %bb.136:
	s_mov_b32 s4, -1
	s_mov_b32 s5, s47
	s_and_saveexec_b32 s6, s7
	s_xor_b32 s53, exec_lo, s6
	s_cbranch_execz .LBB2_138
; %bb.137:
	s_add_u32 s8, s26, 48
	s_addc_u32 s9, s27, 0
	s_getpc_b64 s[4:5]
	s_add_u32 s4, s4, .str.10@rel32@lo+4
	s_addc_u32 s5, s5, .str.10@rel32@hi+12
	s_getpc_b64 s[6:7]
	s_add_u32 s6, s6, __PRETTY_FUNCTION__._ZN9rocsolver6v33100L9idx_lowerIiEET_S2_S2_S2_@rel32@lo+4
	s_addc_u32 s7, s7, __PRETTY_FUNCTION__._ZN9rocsolver6v33100L9idx_lowerIiEET_S2_S2_S2_@rel32@hi+12
	v_mov_b32_e32 v0, s4
	v_mov_b32_e32 v1, s5
	v_mov_b32_e32 v2, 0x51
	v_mov_b32_e32 v3, s6
	v_mov_b32_e32 v4, s7
	s_getpc_b64 s[10:11]
	s_add_u32 s10, s10, __assert_fail@rel32@lo+4
	s_addc_u32 s11, s11, __assert_fail@rel32@hi+12
	s_swappc_b64 s[30:31], s[10:11]
	s_or_b32 s5, s47, exec_lo
	s_xor_b32 s4, exec_lo, -1
.LBB2_138:
	s_or_b32 exec_lo, exec_lo, s53
	s_andn2_b32 s6, s47, exec_lo
	s_and_b32 s5, s5, exec_lo
	s_and_b32 s53, s4, exec_lo
	s_or_b32 s54, s6, s5
.LBB2_139:
	s_andn2_saveexec_b32 s49, s49
	s_cbranch_execz .LBB2_141
; %bb.140:
	s_add_u32 s8, s26, 48
	s_addc_u32 s9, s27, 0
	s_getpc_b64 s[4:5]
	s_add_u32 s4, s4, .str.9@rel32@lo+4
	s_addc_u32 s5, s5, .str.9@rel32@hi+12
	s_getpc_b64 s[6:7]
	s_add_u32 s6, s6, __PRETTY_FUNCTION__._ZN9rocsolver6v33100L9idx_lowerIiEET_S2_S2_S2_@rel32@lo+4
	s_addc_u32 s7, s7, __PRETTY_FUNCTION__._ZN9rocsolver6v33100L9idx_lowerIiEET_S2_S2_S2_@rel32@hi+12
	v_mov_b32_e32 v0, s4
	v_mov_b32_e32 v1, s5
	;; [unrolled: 1-line block ×5, first 2 shown]
	s_getpc_b64 s[10:11]
	s_add_u32 s10, s10, __assert_fail@rel32@lo+4
	s_addc_u32 s11, s11, __assert_fail@rel32@hi+12
	s_swappc_b64 s[30:31], s[10:11]
	s_or_b32 s54, s54, exec_lo
.LBB2_141:
	s_or_b32 exec_lo, exec_lo, s49
	s_andn2_b32 s4, s47, exec_lo
	s_and_b32 s5, s54, exec_lo
	s_and_b32 s49, s53, exec_lo
	s_or_b32 s54, s4, s5
.LBB2_142:
	s_andn2_saveexec_b32 s48, s48
	s_cbranch_execz .LBB2_144
; %bb.143:
	s_add_u32 s8, s26, 48
	s_addc_u32 s9, s27, 0
	s_getpc_b64 s[4:5]
	s_add_u32 s4, s4, .str.8@rel32@lo+4
	s_addc_u32 s5, s5, .str.8@rel32@hi+12
	s_getpc_b64 s[6:7]
	s_add_u32 s6, s6, __PRETTY_FUNCTION__._ZN9rocsolver6v33100L9idx_lowerIiEET_S2_S2_S2_@rel32@lo+4
	s_addc_u32 s7, s7, __PRETTY_FUNCTION__._ZN9rocsolver6v33100L9idx_lowerIiEET_S2_S2_S2_@rel32@hi+12
	v_mov_b32_e32 v0, s4
	v_mov_b32_e32 v1, s5
	v_mov_b32_e32 v2, 0x4f
	v_mov_b32_e32 v3, s6
	v_mov_b32_e32 v4, s7
	s_getpc_b64 s[10:11]
	s_add_u32 s10, s10, __assert_fail@rel32@lo+4
	s_addc_u32 s11, s11, __assert_fail@rel32@hi+12
	s_swappc_b64 s[30:31], s[10:11]
	s_or_b32 s54, s54, exec_lo
.LBB2_144:
	s_or_b32 exec_lo, exec_lo, s48
	s_andn2_b32 s4, s47, exec_lo
	s_and_b32 s5, s54, exec_lo
	s_or_b32 s53, s4, s5
	s_orn2_b32 s4, s49, exec_lo
.LBB2_145:
	s_or_b32 exec_lo, exec_lo, s52
	s_branch .LBB2_97
.LBB2_146:
	s_mov_b32 s4, -1
	s_mov_b32 s35, 0
	s_and_saveexec_b32 s5, s25
	s_cbranch_execz .LBB2_158
; %bb.147:
	v_lshlrev_b32_e32 v0, 2, v41
	v_lshlrev_b32_e32 v1, 2, v42
	s_lshl_b32 s8, s46, 2
	s_lshl_b32 s4, s29, 1
	s_ashr_i32 s35, s34, 31
	s_lshl_b32 s9, s28, 2
	v_sub_nc_u32_e32 v0, v0, v1
	s_sub_i32 s10, 0, s8
	v_sub_nc_u32_e32 v2, s4, v42
	s_add_u32 s4, s40, s38
	s_addc_u32 s6, s41, s39
	s_add_u32 s4, s36, s4
	v_add_nc_u32_e32 v5, 0, v0
	s_addc_u32 s6, s37, s6
	v_add_co_u32 v0, s4, s4, v1
	v_add_nc_u32_e32 v4, 1, v2
	v_add_co_ci_u32_e64 v1, null, s6, 0, s4
	s_mov_b32 s11, 0
	s_lshl_b64 s[6:7], s[34:35], 2
                                        ; implicit-def: $sgpr12
	s_branch .LBB2_149
.LBB2_148:                              ;   in Loop: Header=BB2_149 Depth=1
	s_or_b32 exec_lo, exec_lo, s14
	s_xor_b32 s13, s13, -1
	s_and_b32 s4, exec_lo, s4
	s_or_b32 s11, s4, s11
	s_andn2_b32 s4, s12, exec_lo
	s_and_b32 s12, s13, exec_lo
	s_or_b32 s12, s4, s12
	s_andn2_b32 exec_lo, exec_lo, s11
	s_cbranch_execz .LBB2_157
.LBB2_149:                              ; =>This Loop Header: Depth=1
                                        ;     Child Loop BB2_152 Depth 2
	s_mov_b32 s15, -1
	s_mov_b32 s13, exec_lo
	v_cmpx_le_i32_e64 v42, v41
	s_cbranch_execz .LBB2_155
; %bb.150:                              ;   in Loop: Header=BB2_149 Depth=1
	v_mad_u64_u32 v[2:3], null, s6, v41, v[0:1]
	v_mov_b32_e32 v6, v4
	v_mov_b32_e32 v7, v5
	s_mov_b32 s14, 0
                                        ; implicit-def: $sgpr15
                                        ; implicit-def: $sgpr17
                                        ; implicit-def: $sgpr16
	v_mad_u64_u32 v[8:9], null, s7, v41, v[3:4]
	v_mov_b32_e32 v3, v8
	v_mov_b32_e32 v8, v42
	s_inst_prefetch 0x1
	s_branch .LBB2_152
	.p2align	6
.LBB2_151:                              ;   in Loop: Header=BB2_152 Depth=2
	s_or_b32 exec_lo, exec_lo, s18
	s_xor_b32 s4, s16, -1
	s_and_b32 s18, exec_lo, s17
	s_or_b32 s14, s18, s14
	s_andn2_b32 s15, s15, exec_lo
	s_and_b32 s4, s4, exec_lo
	s_or_b32 s15, s15, s4
	s_andn2_b32 exec_lo, exec_lo, s14
	s_cbranch_execz .LBB2_154
.LBB2_152:                              ;   Parent Loop BB2_149 Depth=1
                                        ; =>  This Inner Loop Header: Depth=2
	s_or_b32 s16, s16, exec_lo
	s_or_b32 s17, s17, exec_lo
	s_mov_b32 s18, exec_lo
	v_cmpx_lt_i32_e32 -1, v8
	s_cbranch_execz .LBB2_151
; %bb.153:                              ;   in Loop: Header=BB2_152 Depth=2
	v_mul_lo_u32 v9, v6, v8
	v_add_nc_u32_e32 v8, s46, v8
	v_subrev_nc_u32_e32 v6, s46, v6
	s_andn2_b32 s16, s16, exec_lo
	v_cmp_gt_i32_e32 vcc_lo, v8, v41
	v_lshrrev_b32_e32 v10, 31, v9
	v_add_lshl_u32 v9, v9, v10, 1
	v_and_b32_e32 v9, -4, v9
	v_add_nc_u32_e32 v9, v7, v9
	v_add_nc_u32_e32 v7, s10, v7
	ds_read_b32 v9, v9
	s_waitcnt lgkmcnt(0)
	global_store_dword v[2:3], v9, off
	v_add_co_u32 v2, s4, v2, s8
	v_add_co_ci_u32_e64 v3, null, 0, v3, s4
	s_andn2_b32 s4, s17, exec_lo
	s_and_b32 s17, vcc_lo, exec_lo
	s_or_b32 s17, s4, s17
	s_branch .LBB2_151
.LBB2_154:                              ;   in Loop: Header=BB2_149 Depth=1
	s_inst_prefetch 0x2
	s_or_b32 exec_lo, exec_lo, s14
	s_orn2_b32 s15, s15, exec_lo
.LBB2_155:                              ;   in Loop: Header=BB2_149 Depth=1
	s_or_b32 exec_lo, exec_lo, s13
	s_mov_b32 s4, -1
	s_mov_b32 s13, -1
	s_and_saveexec_b32 s14, s15
	s_cbranch_execz .LBB2_148
; %bb.156:                              ;   in Loop: Header=BB2_149 Depth=1
	v_add_nc_u32_e32 v41, s28, v41
	v_add_nc_u32_e32 v5, s9, v5
	s_xor_b32 s13, exec_lo, -1
	v_cmp_le_i32_e32 vcc_lo, s29, v41
	s_orn2_b32 s4, vcc_lo, exec_lo
	s_branch .LBB2_148
.LBB2_157:
	s_or_b32 exec_lo, exec_lo, s11
	s_mov_b32 s35, exec_lo
	s_orn2_b32 s4, s12, exec_lo
.LBB2_158:
	s_or_b32 exec_lo, exec_lo, s5
	s_and_saveexec_b32 s5, s4
	s_cbranch_execz .LBB2_98
.LBB2_159:
	s_waitcnt_vscnt null, 0x0
	s_barrier
	s_andn2_b32 s35, s35, exec_lo
	buffer_gl0_inv
	s_or_b32 exec_lo, exec_lo, s5
	s_and_saveexec_b32 s4, s35
	s_xor_b32 s25, exec_lo, s4
	s_cbranch_execnz .LBB2_99
	s_branch .LBB2_100
	.section	.rodata,"a",@progbits
	.p2align	6, 0x0
	.amdhsa_kernel _ZN9rocsolver6v33100L18potf2_kernel_smallIfiiPfEEvbT0_T2_lS3_lPT1_
		.amdhsa_group_segment_fixed_size 0
		.amdhsa_private_segment_fixed_size 64
		.amdhsa_kernarg_size 304
		.amdhsa_user_sgpr_count 8
		.amdhsa_user_sgpr_private_segment_buffer 1
		.amdhsa_user_sgpr_dispatch_ptr 0
		.amdhsa_user_sgpr_queue_ptr 0
		.amdhsa_user_sgpr_kernarg_segment_ptr 1
		.amdhsa_user_sgpr_dispatch_id 0
		.amdhsa_user_sgpr_flat_scratch_init 1
		.amdhsa_user_sgpr_private_segment_size 0
		.amdhsa_wavefront_size32 1
		.amdhsa_uses_dynamic_stack 0
		.amdhsa_system_sgpr_private_segment_wavefront_offset 1
		.amdhsa_system_sgpr_workgroup_id_x 1
		.amdhsa_system_sgpr_workgroup_id_y 0
		.amdhsa_system_sgpr_workgroup_id_z 1
		.amdhsa_system_sgpr_workgroup_info 0
		.amdhsa_system_vgpr_workitem_id 2
		.amdhsa_next_free_vgpr 50
		.amdhsa_next_free_sgpr 55
		.amdhsa_reserve_vcc 1
		.amdhsa_reserve_flat_scratch 1
		.amdhsa_float_round_mode_32 0
		.amdhsa_float_round_mode_16_64 0
		.amdhsa_float_denorm_mode_32 3
		.amdhsa_float_denorm_mode_16_64 3
		.amdhsa_dx10_clamp 1
		.amdhsa_ieee_mode 1
		.amdhsa_fp16_overflow 0
		.amdhsa_workgroup_processor_mode 1
		.amdhsa_memory_ordered 1
		.amdhsa_forward_progress 1
		.amdhsa_shared_vgpr_count 0
		.amdhsa_exception_fp_ieee_invalid_op 0
		.amdhsa_exception_fp_denorm_src 0
		.amdhsa_exception_fp_ieee_div_zero 0
		.amdhsa_exception_fp_ieee_overflow 0
		.amdhsa_exception_fp_ieee_underflow 0
		.amdhsa_exception_fp_ieee_inexact 0
		.amdhsa_exception_int_div_zero 0
	.end_amdhsa_kernel
	.section	.text._ZN9rocsolver6v33100L18potf2_kernel_smallIfiiPfEEvbT0_T2_lS3_lPT1_,"axG",@progbits,_ZN9rocsolver6v33100L18potf2_kernel_smallIfiiPfEEvbT0_T2_lS3_lPT1_,comdat
.Lfunc_end2:
	.size	_ZN9rocsolver6v33100L18potf2_kernel_smallIfiiPfEEvbT0_T2_lS3_lPT1_, .Lfunc_end2-_ZN9rocsolver6v33100L18potf2_kernel_smallIfiiPfEEvbT0_T2_lS3_lPT1_
                                        ; -- End function
	.set _ZN9rocsolver6v33100L18potf2_kernel_smallIfiiPfEEvbT0_T2_lS3_lPT1_.num_vgpr, max(44, .L__assert_fail.num_vgpr)
	.set _ZN9rocsolver6v33100L18potf2_kernel_smallIfiiPfEEvbT0_T2_lS3_lPT1_.num_agpr, max(0, .L__assert_fail.num_agpr)
	.set _ZN9rocsolver6v33100L18potf2_kernel_smallIfiiPfEEvbT0_T2_lS3_lPT1_.numbered_sgpr, max(55, .L__assert_fail.numbered_sgpr)
	.set _ZN9rocsolver6v33100L18potf2_kernel_smallIfiiPfEEvbT0_T2_lS3_lPT1_.num_named_barrier, max(0, .L__assert_fail.num_named_barrier)
	.set _ZN9rocsolver6v33100L18potf2_kernel_smallIfiiPfEEvbT0_T2_lS3_lPT1_.private_seg_size, 0+max(.L__assert_fail.private_seg_size)
	.set _ZN9rocsolver6v33100L18potf2_kernel_smallIfiiPfEEvbT0_T2_lS3_lPT1_.uses_vcc, or(1, .L__assert_fail.uses_vcc)
	.set _ZN9rocsolver6v33100L18potf2_kernel_smallIfiiPfEEvbT0_T2_lS3_lPT1_.uses_flat_scratch, or(1, .L__assert_fail.uses_flat_scratch)
	.set _ZN9rocsolver6v33100L18potf2_kernel_smallIfiiPfEEvbT0_T2_lS3_lPT1_.has_dyn_sized_stack, or(0, .L__assert_fail.has_dyn_sized_stack)
	.set _ZN9rocsolver6v33100L18potf2_kernel_smallIfiiPfEEvbT0_T2_lS3_lPT1_.has_recursion, or(0, .L__assert_fail.has_recursion)
	.set _ZN9rocsolver6v33100L18potf2_kernel_smallIfiiPfEEvbT0_T2_lS3_lPT1_.has_indirect_call, or(0, .L__assert_fail.has_indirect_call)
	.section	.AMDGPU.csdata,"",@progbits
; Kernel info:
; codeLenInByte = 5908
; TotalNumSgprs: 57
; NumVgprs: 50
; ScratchSize: 64
; MemoryBound: 0
; FloatMode: 240
; IeeeMode: 1
; LDSByteSize: 0 bytes/workgroup (compile time only)
; SGPRBlocks: 0
; VGPRBlocks: 6
; NumSGPRsForWavesPerEU: 57
; NumVGPRsForWavesPerEU: 50
; Occupancy: 16
; WaveLimiterHint : 1
; COMPUTE_PGM_RSRC2:SCRATCH_EN: 1
; COMPUTE_PGM_RSRC2:USER_SGPR: 8
; COMPUTE_PGM_RSRC2:TRAP_HANDLER: 0
; COMPUTE_PGM_RSRC2:TGID_X_EN: 1
; COMPUTE_PGM_RSRC2:TGID_Y_EN: 0
; COMPUTE_PGM_RSRC2:TGID_Z_EN: 1
; COMPUTE_PGM_RSRC2:TIDIG_COMP_CNT: 2
	.section	.text._ZN9rocsolver6v33100L18potf2_kernel_smallIfiiPKPfEEvbT0_T2_lS5_lPT1_,"axG",@progbits,_ZN9rocsolver6v33100L18potf2_kernel_smallIfiiPKPfEEvbT0_T2_lS5_lPT1_,comdat
	.globl	_ZN9rocsolver6v33100L18potf2_kernel_smallIfiiPKPfEEvbT0_T2_lS5_lPT1_ ; -- Begin function _ZN9rocsolver6v33100L18potf2_kernel_smallIfiiPKPfEEvbT0_T2_lS5_lPT1_
	.p2align	8
	.type	_ZN9rocsolver6v33100L18potf2_kernel_smallIfiiPKPfEEvbT0_T2_lS5_lPT1_,@function
_ZN9rocsolver6v33100L18potf2_kernel_smallIfiiPKPfEEvbT0_T2_lS5_lPT1_: ; @_ZN9rocsolver6v33100L18potf2_kernel_smallIfiiPKPfEEvbT0_T2_lS5_lPT1_
; %bb.0:
	s_add_u32 s6, s6, s10
	s_mov_b32 s32, 0
	s_addc_u32 s7, s7, 0
	s_setreg_b32 hwreg(HW_REG_FLAT_SCR_LO), s6
	s_setreg_b32 hwreg(HW_REG_FLAT_SCR_HI), s7
	s_load_dwordx2 s[40:41], s[4:5], 0x3c
	s_add_u32 s0, s0, s10
	v_mov_b32_e32 v43, v2
	v_mov_b32_e32 v41, v1
	;; [unrolled: 1-line block ×3, first 2 shown]
	s_addc_u32 s1, s1, 0
	s_mov_b64 s[26:27], s[4:5]
	s_mov_b32 s36, s9
	s_waitcnt lgkmcnt(0)
	s_and_b32 s4, s41, 0xffff
	s_cmp_eq_u32 s4, 1
	s_cbranch_scc1 .LBB3_2
; %bb.1:
	s_add_u32 s8, s26, 48
	s_addc_u32 s9, s27, 0
	s_getpc_b64 s[4:5]
	s_add_u32 s4, s4, .str@rel32@lo+4
	s_addc_u32 s5, s5, .str@rel32@hi+12
	s_getpc_b64 s[6:7]
	s_add_u32 s6, s6, __PRETTY_FUNCTION__._ZN9rocsolver6v33100L18potf2_kernel_smallIfiiPKPfEEvbT0_T2_lS5_lPT1_@rel32@lo+4
	s_addc_u32 s7, s7, __PRETTY_FUNCTION__._ZN9rocsolver6v33100L18potf2_kernel_smallIfiiPKPfEEvbT0_T2_lS5_lPT1_@rel32@hi+12
	v_mov_b32_e32 v0, s4
	v_mov_b32_e32 v1, s5
	;; [unrolled: 1-line block ×5, first 2 shown]
	s_getpc_b64 s[10:11]
	s_add_u32 s10, s10, __assert_fail@rel32@lo+4
	s_addc_u32 s11, s11, __assert_fail@rel32@hi+12
	s_swappc_b64 s[30:31], s[10:11]
	s_mov_b32 s41, -1
	s_cbranch_execz .LBB3_3
	s_branch .LBB3_114
.LBB3_2:
	s_mov_b32 s41, 0
.LBB3_3:
	s_load_dwordx4 s[4:7], s[26:27], 0x8
	s_waitcnt lgkmcnt(0)
	s_cmp_lg_u64 s[4:5], 0
	s_cbranch_scc0 .LBB3_22
; %bb.4:
	s_load_dwordx2 s[38:39], s[26:27], 0x28
	s_waitcnt lgkmcnt(0)
	s_cmp_lg_u64 s[38:39], 0
	s_cbranch_scc0 .LBB3_23
; %bb.5:
	s_mov_b32 s37, 0
	v_mov_b32_e32 v0, 0
	s_lshl_b64 s[8:9], s[36:37], 3
	s_add_u32 s4, s4, s8
	s_addc_u32 s5, s5, s9
	global_load_dwordx2 v[0:1], v0, s[4:5]
	s_waitcnt vmcnt(0)
	v_cmp_ne_u64_e32 vcc_lo, 0, v[0:1]
	s_cbranch_vccz .LBB3_24
; %bb.6:
	s_clause 0x1
	s_load_dwordx2 s[28:29], s[26:27], 0x0
	s_load_dword s34, s[26:27], 0x18
	s_lshl_b64 s[6:7], s[6:7], 2
	s_mov_b32 s5, -1
	v_add_co_u32 v44, vcc_lo, v0, s6
	v_add_co_ci_u32_e64 v45, null, s7, v1, vcc_lo
	s_waitcnt lgkmcnt(0)
	s_waitcnt_vscnt null, 0x0
	s_barrier
	buffer_gl0_inv
	s_bitcmp1_b32 s28, 0
	v_cmp_gt_i32_e64 s25, s29, v41
	s_cselect_b32 s4, -1, 0
	s_lshr_b32 s28, s40, 16
	s_xor_b32 s44, s4, -1
	s_and_b32 s40, s40, 0xffff
	s_and_b32 vcc_lo, exec_lo, s44
	s_cbranch_vccz .LBB3_25
; %bb.7:
	s_mov_b32 s4, -1
	s_and_saveexec_b32 s35, s25
	s_cbranch_execz .LBB3_37
; %bb.8:
	v_add_nc_u32_e32 v2, v41, v42
	v_lshl_add_u32 v3, v42, 2, 0
	v_mov_b32_e32 v4, v41
	s_lshl_b32 s4, s29, 1
	s_mov_b32 s8, 0
	s_or_b32 s10, s4, 1
	s_lshl_b32 s11, s40, 2
                                        ; implicit-def: $sgpr9
                                        ; implicit-def: $sgpr7
                                        ; implicit-def: $sgpr6
                                        ; implicit-def: $sgpr12
	s_branch .LBB3_10
.LBB3_9:                                ;   in Loop: Header=BB3_10 Depth=1
	s_or_b32 exec_lo, exec_lo, s15
	s_xor_b32 s4, s13, -1
	s_xor_b32 s13, s14, -1
	s_and_b32 s5, exec_lo, s5
	s_or_b32 s8, s5, s8
	s_andn2_b32 s5, s6, exec_lo
	s_and_b32 s6, s12, exec_lo
	s_and_b32 s4, s4, exec_lo
	s_or_b32 s6, s5, s6
	s_andn2_b32 s5, s7, exec_lo
	s_andn2_b32 s9, s9, exec_lo
	s_and_b32 s13, s13, exec_lo
	s_or_b32 s7, s5, s4
	s_or_b32 s9, s9, s13
	s_andn2_b32 exec_lo, exec_lo, s8
	s_cbranch_execz .LBB3_26
.LBB3_10:                               ; =>This Loop Header: Depth=1
                                        ;     Child Loop BB3_15 Depth 2
	v_add_nc_u32_e32 v0, v4, v42
	s_mov_b32 s4, -1
	s_mov_b32 s15, exec_lo
                                        ; implicit-def: $sgpr14
                                        ; implicit-def: $sgpr13
                                        ; implicit-def: $sgpr16
	v_cmpx_gt_i32_e64 s29, v0
	s_cbranch_execz .LBB3_20
; %bb.11:                               ;   in Loop: Header=BB3_10 Depth=1
	v_sub_nc_u32_e32 v1, s10, v4
	v_mad_i64_i32 v[5:6], null, v4, s34, 0
	s_mov_b32 s17, 0
	v_cmp_lt_i32_e32 vcc_lo, -1, v4
	v_mul_lo_u32 v1, v1, v4
                                        ; implicit-def: $sgpr18
                                        ; implicit-def: $sgpr16
                                        ; implicit-def: $sgpr13
                                        ; implicit-def: $sgpr14
                                        ; implicit-def: $sgpr20
                                        ; implicit-def: $sgpr23
                                        ; implicit-def: $sgpr21
                                        ; implicit-def: $sgpr19
                                        ; implicit-def: $sgpr22
	v_lshlrev_b64 v[5:6], 2, v[5:6]
	v_lshrrev_b32_e32 v7, 31, v1
	v_add_co_u32 v5, s4, v44, v5
	v_add_co_ci_u32_e64 v6, null, v45, v6, s4
	v_add_lshl_u32 v1, v1, v7, 1
	v_cmp_ge_u32_e64 s4, v2, v4
	v_and_b32_e32 v1, -4, v1
	v_add_nc_u32_e32 v7, v3, v1
	s_branch .LBB3_15
.LBB3_12:                               ;   in Loop: Header=BB3_15 Depth=2
	s_or_b32 exec_lo, exec_lo, s31
	s_mov_b32 s5, exec_lo
	s_orn2_b32 s42, s33, exec_lo
	s_xor_b32 s33, exec_lo, -1
	s_orn2_b32 s31, s43, exec_lo
.LBB3_13:                               ;   in Loop: Header=BB3_15 Depth=2
	s_or_b32 exec_lo, exec_lo, s30
	s_andn2_b32 s22, s22, exec_lo
	s_and_b32 s30, s42, exec_lo
	s_andn2_b32 s21, s21, exec_lo
	s_or_b32 s22, s22, s30
	s_and_b32 s30, s33, exec_lo
	s_andn2_b32 s23, s23, exec_lo
	s_or_b32 s21, s21, s30
	s_and_b32 s5, s5, exec_lo
	s_andn2_b32 s20, s20, exec_lo
	s_and_b32 s30, s31, exec_lo
	s_andn2_b32 s19, s19, exec_lo
	s_or_b32 s23, s23, s5
	s_or_b32 s20, s20, s30
.LBB3_14:                               ;   in Loop: Header=BB3_15 Depth=2
	s_or_b32 exec_lo, exec_lo, s24
	s_xor_b32 s5, s22, -1
	s_and_b32 s24, exec_lo, s20
	s_or_b32 s17, s24, s17
	s_andn2_b32 s14, s14, exec_lo
	s_and_b32 s24, s19, exec_lo
	s_andn2_b32 s13, s13, exec_lo
	s_and_b32 s30, s21, exec_lo
	s_or_b32 s14, s14, s24
	s_andn2_b32 s16, s16, exec_lo
	s_and_b32 s24, s23, exec_lo
	s_andn2_b32 s18, s18, exec_lo
	s_and_b32 s5, s5, exec_lo
	s_or_b32 s13, s13, s30
	s_or_b32 s16, s16, s24
	;; [unrolled: 1-line block ×3, first 2 shown]
	s_andn2_b32 exec_lo, exec_lo, s17
	s_cbranch_execz .LBB3_19
.LBB3_15:                               ;   Parent Loop BB3_10 Depth=1
                                        ; =>  This Inner Loop Header: Depth=2
	s_or_b32 s22, s22, exec_lo
	s_or_b32 s19, s19, exec_lo
	s_andn2_b32 s21, s21, exec_lo
	s_andn2_b32 s23, s23, exec_lo
	s_or_b32 s20, s20, exec_lo
	s_mov_b32 s24, exec_lo
	v_cmpx_lt_i32_e32 -1, v0
	s_cbranch_execz .LBB3_14
; %bb.16:                               ;   in Loop: Header=BB3_15 Depth=2
	s_mov_b32 s5, 0
	s_mov_b32 s31, -1
	s_mov_b32 s33, -1
	;; [unrolled: 1-line block ×3, first 2 shown]
	s_and_saveexec_b32 s30, vcc_lo
	s_cbranch_execz .LBB3_13
; %bb.17:                               ;   in Loop: Header=BB3_15 Depth=2
	s_mov_b32 s43, -1
	s_and_saveexec_b32 s31, s4
	s_cbranch_execz .LBB3_12
; %bb.18:                               ;   in Loop: Header=BB3_15 Depth=2
	v_ashrrev_i32_e32 v1, 31, v0
	s_xor_b32 s33, exec_lo, -1
	v_lshlrev_b64 v[8:9], 2, v[0:1]
	v_add_nc_u32_e32 v0, s40, v0
	v_add_co_u32 v8, s5, v5, v8
	v_add_co_ci_u32_e64 v9, null, v6, v9, s5
	v_cmp_le_i32_e64 s5, s29, v0
	flat_load_dword v1, v[8:9]
	s_orn2_b32 s43, s5, exec_lo
	s_waitcnt vmcnt(0) lgkmcnt(0)
	ds_write_b32 v7, v1
	v_add_nc_u32_e32 v7, s11, v7
	s_branch .LBB3_12
.LBB3_19:                               ;   in Loop: Header=BB3_10 Depth=1
	s_or_b32 exec_lo, exec_lo, s17
	s_orn2_b32 s4, s18, exec_lo
.LBB3_20:                               ;   in Loop: Header=BB3_10 Depth=1
	s_or_b32 exec_lo, exec_lo, s15
	s_andn2_b32 s12, s12, exec_lo
	s_and_b32 s15, s16, exec_lo
	s_mov_b32 s5, -1
	s_or_b32 s12, s12, s15
	s_and_saveexec_b32 s15, s4
	s_cbranch_execz .LBB3_9
; %bb.21:                               ;   in Loop: Header=BB3_10 Depth=1
	v_add_nc_u32_e32 v4, s28, v4
	v_add_nc_u32_e32 v2, s28, v2
	s_andn2_b32 s12, s12, exec_lo
	s_andn2_b32 s13, s13, exec_lo
	;; [unrolled: 1-line block ×3, first 2 shown]
	v_cmp_le_i32_e32 vcc_lo, s29, v4
	s_orn2_b32 s5, vcc_lo, exec_lo
	s_branch .LBB3_9
.LBB3_22:
	s_cbranch_execnz .LBB3_113
	s_branch .LBB3_114
.LBB3_23:
	s_cbranch_execnz .LBB3_111
	s_branch .LBB3_112
.LBB3_24:
	s_cbranch_execnz .LBB3_109
	s_branch .LBB3_110
.LBB3_25:
	s_mov_b32 s4, s37
	s_and_b32 vcc_lo, exec_lo, s5
	s_mov_b32 s42, 0
	s_cbranch_vccnz .LBB3_38
	s_branch .LBB3_51
.LBB3_26:
	s_or_b32 exec_lo, exec_lo, s8
	s_mov_b32 s43, 0
	s_mov_b32 s46, s41
	s_and_saveexec_b32 s4, s9
	s_xor_b32 s42, exec_lo, s4
	s_cbranch_execz .LBB3_34
; %bb.27:
	s_mov_b32 s45, 0
	s_mov_b32 s46, s41
	s_and_saveexec_b32 s4, s7
	s_xor_b32 s43, exec_lo, s4
	s_cbranch_execz .LBB3_31
; %bb.28:
	s_mov_b32 s4, -1
	s_mov_b32 s5, s41
	s_and_saveexec_b32 s7, s6
	s_xor_b32 s45, exec_lo, s7
	s_cbranch_execz .LBB3_30
; %bb.29:
	s_add_u32 s8, s26, 48
	s_addc_u32 s9, s27, 0
	s_getpc_b64 s[4:5]
	s_add_u32 s4, s4, .str.10@rel32@lo+4
	s_addc_u32 s5, s5, .str.10@rel32@hi+12
	s_getpc_b64 s[6:7]
	s_add_u32 s6, s6, __PRETTY_FUNCTION__._ZN9rocsolver6v33100L9idx_lowerIiEET_S2_S2_S2_@rel32@lo+4
	s_addc_u32 s7, s7, __PRETTY_FUNCTION__._ZN9rocsolver6v33100L9idx_lowerIiEET_S2_S2_S2_@rel32@hi+12
	v_mov_b32_e32 v0, s4
	v_mov_b32_e32 v1, s5
	v_mov_b32_e32 v2, 0x51
	v_mov_b32_e32 v3, s6
	v_mov_b32_e32 v4, s7
	s_getpc_b64 s[10:11]
	s_add_u32 s10, s10, __assert_fail@rel32@lo+4
	s_addc_u32 s11, s11, __assert_fail@rel32@hi+12
	s_swappc_b64 s[30:31], s[10:11]
	s_or_b32 s5, s41, exec_lo
	s_xor_b32 s4, exec_lo, -1
.LBB3_30:
	s_or_b32 exec_lo, exec_lo, s45
	s_andn2_b32 s6, s41, exec_lo
	s_and_b32 s5, s5, exec_lo
	s_and_b32 s45, s4, exec_lo
	s_or_b32 s46, s6, s5
.LBB3_31:
	s_andn2_saveexec_b32 s43, s43
	s_cbranch_execz .LBB3_33
; %bb.32:
	s_add_u32 s8, s26, 48
	s_addc_u32 s9, s27, 0
	s_getpc_b64 s[4:5]
	s_add_u32 s4, s4, .str.9@rel32@lo+4
	s_addc_u32 s5, s5, .str.9@rel32@hi+12
	s_getpc_b64 s[6:7]
	s_add_u32 s6, s6, __PRETTY_FUNCTION__._ZN9rocsolver6v33100L9idx_lowerIiEET_S2_S2_S2_@rel32@lo+4
	s_addc_u32 s7, s7, __PRETTY_FUNCTION__._ZN9rocsolver6v33100L9idx_lowerIiEET_S2_S2_S2_@rel32@hi+12
	v_mov_b32_e32 v0, s4
	v_mov_b32_e32 v1, s5
	;; [unrolled: 1-line block ×5, first 2 shown]
	s_getpc_b64 s[10:11]
	s_add_u32 s10, s10, __assert_fail@rel32@lo+4
	s_addc_u32 s11, s11, __assert_fail@rel32@hi+12
	s_swappc_b64 s[30:31], s[10:11]
	s_or_b32 s46, s46, exec_lo
.LBB3_33:
	s_or_b32 exec_lo, exec_lo, s43
	s_andn2_b32 s4, s41, exec_lo
	s_and_b32 s5, s46, exec_lo
	s_and_b32 s43, s45, exec_lo
	s_or_b32 s46, s4, s5
.LBB3_34:
	s_andn2_saveexec_b32 s42, s42
	s_cbranch_execz .LBB3_36
; %bb.35:
	s_add_u32 s8, s26, 48
	s_addc_u32 s9, s27, 0
	s_getpc_b64 s[4:5]
	s_add_u32 s4, s4, .str.8@rel32@lo+4
	s_addc_u32 s5, s5, .str.8@rel32@hi+12
	s_getpc_b64 s[6:7]
	s_add_u32 s6, s6, __PRETTY_FUNCTION__._ZN9rocsolver6v33100L9idx_lowerIiEET_S2_S2_S2_@rel32@lo+4
	s_addc_u32 s7, s7, __PRETTY_FUNCTION__._ZN9rocsolver6v33100L9idx_lowerIiEET_S2_S2_S2_@rel32@hi+12
	v_mov_b32_e32 v0, s4
	v_mov_b32_e32 v1, s5
	;; [unrolled: 1-line block ×5, first 2 shown]
	s_getpc_b64 s[10:11]
	s_add_u32 s10, s10, __assert_fail@rel32@lo+4
	s_addc_u32 s11, s11, __assert_fail@rel32@hi+12
	s_swappc_b64 s[30:31], s[10:11]
	s_or_b32 s46, s46, exec_lo
.LBB3_36:
	s_or_b32 exec_lo, exec_lo, s42
	s_andn2_b32 s4, s41, exec_lo
	s_and_b32 s5, s46, exec_lo
	s_or_b32 s41, s4, s5
	s_orn2_b32 s4, s43, exec_lo
.LBB3_37:
	s_or_b32 exec_lo, exec_lo, s35
	s_mov_b32 s42, 0
	s_branch .LBB3_51
.LBB3_38:
	s_mov_b32 s4, -1
	s_and_saveexec_b32 s5, s25
	s_cbranch_execz .LBB3_50
; %bb.39:
	v_lshlrev_b32_e32 v0, 2, v41
	v_lshlrev_b32_e32 v1, 2, v42
	s_lshl_b32 s4, s29, 1
	v_mov_b32_e32 v6, v41
	v_sub_nc_u32_e32 v2, s4, v42
	s_ashr_i32 s35, s34, 31
	v_sub_nc_u32_e32 v0, v0, v1
	s_lshl_b32 s9, s40, 2
	s_mov_b32 s8, 0
	v_add_nc_u32_e32 v4, 1, v2
	s_lshl_b32 s10, s28, 2
	v_add_nc_u32_e32 v5, 0, v0
	v_add_co_u32 v0, vcc_lo, v44, v1
	v_add_co_ci_u32_e64 v1, null, 0, v45, vcc_lo
	s_sub_i32 s12, 0, s9
	s_lshl_b64 s[6:7], s[34:35], 2
                                        ; implicit-def: $sgpr11
	s_branch .LBB3_41
.LBB3_40:                               ;   in Loop: Header=BB3_41 Depth=1
	s_or_b32 exec_lo, exec_lo, s14
	s_xor_b32 s13, s13, -1
	s_and_b32 s4, exec_lo, s4
	s_or_b32 s8, s4, s8
	s_andn2_b32 s4, s11, exec_lo
	s_and_b32 s11, s13, exec_lo
	s_or_b32 s11, s4, s11
	s_andn2_b32 exec_lo, exec_lo, s8
	s_cbranch_execz .LBB3_49
.LBB3_41:                               ; =>This Loop Header: Depth=1
                                        ;     Child Loop BB3_44 Depth 2
	s_mov_b32 s15, -1
	s_mov_b32 s13, exec_lo
	v_cmpx_le_i32_e64 v42, v6
	s_cbranch_execz .LBB3_47
; %bb.42:                               ;   in Loop: Header=BB3_41 Depth=1
	v_mad_u64_u32 v[2:3], null, s6, v6, v[0:1]
	v_mov_b32_e32 v7, v4
	v_mov_b32_e32 v8, v5
	s_mov_b32 s14, 0
                                        ; implicit-def: $sgpr15
                                        ; implicit-def: $sgpr17
                                        ; implicit-def: $sgpr16
	v_mad_u64_u32 v[9:10], null, s7, v6, v[3:4]
	v_mov_b32_e32 v3, v9
	v_mov_b32_e32 v9, v42
	s_inst_prefetch 0x1
	s_branch .LBB3_44
	.p2align	6
.LBB3_43:                               ;   in Loop: Header=BB3_44 Depth=2
	s_or_b32 exec_lo, exec_lo, s18
	s_xor_b32 s4, s16, -1
	s_and_b32 s18, exec_lo, s17
	s_or_b32 s14, s18, s14
	s_andn2_b32 s15, s15, exec_lo
	s_and_b32 s4, s4, exec_lo
	s_or_b32 s15, s15, s4
	s_andn2_b32 exec_lo, exec_lo, s14
	s_cbranch_execz .LBB3_46
.LBB3_44:                               ;   Parent Loop BB3_41 Depth=1
                                        ; =>  This Inner Loop Header: Depth=2
	s_or_b32 s16, s16, exec_lo
	s_or_b32 s17, s17, exec_lo
	s_mov_b32 s18, exec_lo
	v_cmpx_lt_i32_e32 -1, v9
	s_cbranch_execz .LBB3_43
; %bb.45:                               ;   in Loop: Header=BB3_44 Depth=2
	flat_load_dword v10, v[2:3]
	v_mul_lo_u32 v11, v7, v9
	v_add_nc_u32_e32 v9, s40, v9
	v_add_co_u32 v2, s4, v2, s9
	v_subrev_nc_u32_e32 v7, s40, v7
	v_add_co_ci_u32_e64 v3, null, 0, v3, s4
	v_cmp_gt_i32_e32 vcc_lo, v9, v6
	v_lshrrev_b32_e32 v12, 31, v11
	s_andn2_b32 s4, s17, exec_lo
	s_andn2_b32 s16, s16, exec_lo
	s_and_b32 s17, vcc_lo, exec_lo
	v_add_lshl_u32 v11, v11, v12, 1
	s_or_b32 s17, s4, s17
	v_and_b32_e32 v11, -4, v11
	v_add_nc_u32_e32 v11, v8, v11
	v_add_nc_u32_e32 v8, s12, v8
	s_waitcnt vmcnt(0) lgkmcnt(0)
	ds_write_b32 v11, v10
	s_branch .LBB3_43
.LBB3_46:                               ;   in Loop: Header=BB3_41 Depth=1
	s_inst_prefetch 0x2
	s_or_b32 exec_lo, exec_lo, s14
	s_orn2_b32 s15, s15, exec_lo
.LBB3_47:                               ;   in Loop: Header=BB3_41 Depth=1
	s_or_b32 exec_lo, exec_lo, s13
	s_mov_b32 s4, -1
	s_mov_b32 s13, -1
	s_and_saveexec_b32 s14, s15
	s_cbranch_execz .LBB3_40
; %bb.48:                               ;   in Loop: Header=BB3_41 Depth=1
	v_add_nc_u32_e32 v6, s28, v6
	v_add_nc_u32_e32 v5, s10, v5
	s_xor_b32 s13, exec_lo, -1
	v_cmp_le_i32_e32 vcc_lo, s29, v6
	s_orn2_b32 s4, vcc_lo, exec_lo
	s_branch .LBB3_40
.LBB3_49:
	s_or_b32 exec_lo, exec_lo, s8
	s_mov_b32 s42, exec_lo
	s_orn2_b32 s4, s11, exec_lo
.LBB3_50:
	s_or_b32 exec_lo, exec_lo, s5
.LBB3_51:
	s_and_saveexec_b32 s43, s4
	s_cbranch_execz .LBB3_106
; %bb.52:
	s_cmp_gt_i32 s29, 0
	s_mov_b32 s8, 0
	s_waitcnt lgkmcnt(0)
	s_waitcnt_vscnt null, 0x0
	s_barrier
	buffer_gl0_inv
	s_cbranch_scc0 .LBB3_94
; %bb.53:
	s_mul_i32 s9, s28, s40
	v_mul_u32_u24_e32 v2, s40, v41
	v_mul_lo_u32 v1, s9, v43
	s_lshl_b64 s[4:5], s[36:37], 2
	v_lshlrev_b32_e32 v3, 2, v41
	s_add_u32 s6, s38, s4
	s_addc_u32 s7, s39, s5
	s_lshl_b32 s4, s29, 1
	v_lshl_add_u32 v0, v42, 2, 0
	s_or_b32 s13, s4, 1
	v_add3_u32 v1, v2, v42, v1
	v_sub_nc_u32_e32 v2, 0, v3
	v_mov_b32_e32 v3, 0
	s_lshl_b32 s12, s9, 2
	s_lshl_b32 s14, s40, 2
	v_cmp_eq_u32_e64 s4, 0, v1
	s_lshl_b32 s15, s28, 2
	s_mov_b32 s17, 0
                                        ; implicit-def: $sgpr16
                                        ; implicit-def: $sgpr11
                                        ; implicit-def: $sgpr10
	s_branch .LBB3_55
.LBB3_54:                               ;   in Loop: Header=BB3_55 Depth=1
	s_or_b32 exec_lo, exec_lo, s21
	s_xor_b32 s18, s30, -1
	s_xor_b32 s19, s23, -1
	;; [unrolled: 1-line block ×3, first 2 shown]
	s_and_b32 s5, exec_lo, s5
	s_or_b32 s8, s5, s8
	s_andn2_b32 s5, s10, exec_lo
	s_and_b32 s10, s18, exec_lo
	s_andn2_b32 s16, s16, exec_lo
	s_or_b32 s10, s5, s10
	s_andn2_b32 s5, s11, exec_lo
	s_and_b32 s11, s19, exec_lo
	s_and_b32 s18, s20, exec_lo
	s_or_b32 s11, s5, s11
	s_or_b32 s16, s16, s18
	s_andn2_b32 exec_lo, exec_lo, s8
	s_cbranch_execz .LBB3_89
.LBB3_55:                               ; =>This Loop Header: Depth=1
                                        ;     Child Loop BB3_67 Depth 2
                                        ;     Child Loop BB3_77 Depth 2
                                        ;       Child Loop BB3_81 Depth 3
	s_sub_i32 s5, s13, s17
	s_mov_b32 s19, 0
	s_mul_i32 s5, s5, s17
	s_lshr_b32 s18, s5, 31
	s_add_i32 s5, s5, s18
	s_ashr_i32 s30, s5, 1
	s_mov_b32 s5, -1
	s_lshl_b32 s21, s30, 2
	s_add_i32 s22, s21, 0
	v_mov_b32_e32 v4, s22
	ds_read_b32 v4, v4
	s_waitcnt lgkmcnt(0)
	v_cmp_class_f32_e64 s18, v4, 0x180
	s_and_b32 vcc_lo, exec_lo, s18
	s_cbranch_vccnz .LBB3_60
; %bb.56:                               ;   in Loop: Header=BB3_55 Depth=1
	s_and_saveexec_b32 s5, s4
	s_cbranch_execz .LBB3_59
; %bb.57:                               ;   in Loop: Header=BB3_55 Depth=1
	global_load_dword v5, v3, s[6:7]
	s_waitcnt vmcnt(0)
	v_cmp_ne_u32_e32 vcc_lo, 0, v5
	s_cbranch_vccnz .LBB3_59
; %bb.58:                               ;   in Loop: Header=BB3_55 Depth=1
	s_add_i32 s19, s17, 1
	v_mov_b32_e32 v5, s19
	global_store_dword v3, v5, s[6:7]
.LBB3_59:                               ;   in Loop: Header=BB3_55 Depth=1
	s_or_b32 exec_lo, exec_lo, s5
	s_mov_b32 s5, 0
	s_mov_b32 s19, -1
.LBB3_60:                               ;   in Loop: Header=BB3_55 Depth=1
	s_andn2_b32 vcc_lo, exec_lo, s5
	s_cbranch_vccnz .LBB3_70
; %bb.61:                               ;   in Loop: Header=BB3_55 Depth=1
	v_mul_f32_e32 v5, 0x4f800000, v4
	v_cmp_gt_f32_e32 vcc_lo, 0xf800000, v4
	v_cndmask_b32_e32 v4, v4, v5, vcc_lo
	v_sqrt_f32_e32 v5, v4
	v_add_nc_u32_e32 v6, -1, v5
	v_add_nc_u32_e32 v7, 1, v5
	v_fma_f32 v8, -v6, v5, v4
	v_fma_f32 v9, -v7, v5, v4
	v_cmp_ge_f32_e64 s5, 0, v8
	v_cndmask_b32_e64 v5, v5, v6, s5
	v_cmp_lt_f32_e64 s5, 0, v9
	v_cndmask_b32_e64 v5, v5, v7, s5
	v_mul_f32_e32 v6, 0x37800000, v5
	v_cndmask_b32_e32 v5, v5, v6, vcc_lo
	v_cmp_class_f32_e64 vcc_lo, v4, 0x260
	v_cndmask_b32_e32 v4, v5, v4, vcc_lo
	s_and_saveexec_b32 s5, s4
; %bb.62:                               ;   in Loop: Header=BB3_55 Depth=1
	v_mov_b32_e32 v5, s22
	ds_write_b32 v5, v4
; %bb.63:                               ;   in Loop: Header=BB3_55 Depth=1
	s_or_b32 exec_lo, exec_lo, s5
	s_add_i32 s5, s17, 1
	s_mov_b32 s31, -1
	v_add_nc_u32_e32 v5, s5, v1
	s_mov_b32 s24, exec_lo
	s_waitcnt lgkmcnt(0)
	s_waitcnt_vscnt null, 0x0
	s_barrier
	buffer_gl0_inv
                                        ; implicit-def: $sgpr20
                                        ; implicit-def: $sgpr23
	v_cmpx_gt_i32_e64 s29, v5
	s_cbranch_execz .LBB3_72
; %bb.64:                               ;   in Loop: Header=BB3_55 Depth=1
	v_add_lshl_u32 v6, v1, s30, 2
	s_mov_b32 s30, 0
                                        ; implicit-def: $sgpr31
                                        ; implicit-def: $sgpr23
                                        ; implicit-def: $sgpr20
                                        ; implicit-def: $sgpr36
                                        ; implicit-def: $sgpr33
                                        ; implicit-def: $sgpr35
                                        ; implicit-def: $sgpr37
	v_add3_u32 v6, 0, 4, v6
	s_branch .LBB3_67
.LBB3_65:                               ;   in Loop: Header=BB3_67 Depth=2
	s_or_b32 exec_lo, exec_lo, s39
	s_andn2_b32 s37, s37, exec_lo
	s_and_b32 s39, s46, exec_lo
	s_andn2_b32 s36, s36, exec_lo
	s_or_b32 s37, s37, s39
	s_and_b32 s39, s45, exec_lo
	s_andn2_b32 s35, s35, exec_lo
	s_or_b32 s33, s33, exec_lo
	s_or_b32 s36, s36, s39
.LBB3_66:                               ;   in Loop: Header=BB3_67 Depth=2
	s_or_b32 exec_lo, exec_lo, s38
	s_xor_b32 s38, s37, -1
	s_and_b32 s39, exec_lo, s36
	s_or_b32 s30, s39, s30
	s_andn2_b32 s20, s20, exec_lo
	s_and_b32 s39, s35, exec_lo
	s_andn2_b32 s23, s23, exec_lo
	s_or_b32 s20, s20, s39
	s_and_b32 s39, s33, exec_lo
	s_andn2_b32 s31, s31, exec_lo
	s_and_b32 s38, s38, exec_lo
	s_or_b32 s23, s23, s39
	s_or_b32 s31, s31, s38
	s_andn2_b32 exec_lo, exec_lo, s30
	s_cbranch_execz .LBB3_71
.LBB3_67:                               ;   Parent Loop BB3_55 Depth=1
                                        ; =>  This Inner Loop Header: Depth=2
	s_or_b32 s37, s37, exec_lo
	s_or_b32 s35, s35, exec_lo
	s_andn2_b32 s33, s33, exec_lo
	s_or_b32 s36, s36, exec_lo
	s_mov_b32 s38, exec_lo
	v_cmpx_lt_i32_e32 -1, v5
	s_cbranch_execz .LBB3_66
; %bb.68:                               ;   in Loop: Header=BB3_67 Depth=2
	s_mov_b32 s45, -1
	s_mov_b32 s46, -1
	s_mov_b32 s39, exec_lo
	v_cmpx_le_u32_e64 s17, v5
	s_cbranch_execz .LBB3_65
; %bb.69:                               ;   in Loop: Header=BB3_67 Depth=2
	ds_read_b32 v7, v6
	v_add_nc_u32_e32 v5, s9, v5
	s_xor_b32 s46, exec_lo, -1
	s_waitcnt lgkmcnt(0)
	v_div_scale_f32 v8, null, v4, v4, v7
	v_div_scale_f32 v11, vcc_lo, v7, v4, v7
	v_rcp_f32_e32 v9, v8
	v_fma_f32 v10, -v8, v9, 1.0
	v_fmac_f32_e32 v9, v10, v9
	v_mul_f32_e32 v10, v11, v9
	v_fma_f32 v12, -v8, v10, v11
	v_fmac_f32_e32 v10, v12, v9
	v_fma_f32 v8, -v8, v10, v11
	v_div_fmas_f32 v8, v8, v9, v10
	v_cmp_le_i32_e32 vcc_lo, s29, v5
	v_div_fixup_f32 v7, v8, v4, v7
	s_orn2_b32 s45, vcc_lo, exec_lo
	ds_write_b32 v6, v7
	v_add_nc_u32_e32 v6, s12, v6
	s_branch .LBB3_65
.LBB3_70:                               ;   in Loop: Header=BB3_55 Depth=1
                                        ; implicit-def: $sgpr20
                                        ; implicit-def: $sgpr23
                                        ; implicit-def: $sgpr30
	s_mov_b32 s5, -1
	s_and_saveexec_b32 s21, s19
	s_cbranch_execz .LBB3_54
	s_branch .LBB3_88
.LBB3_71:                               ;   in Loop: Header=BB3_55 Depth=1
	s_or_b32 exec_lo, exec_lo, s30
	s_orn2_b32 s31, s31, exec_lo
.LBB3_72:                               ;   in Loop: Header=BB3_55 Depth=1
	s_or_b32 exec_lo, exec_lo, s24
	s_mov_b32 s30, 0
	s_and_saveexec_b32 s24, s31
	s_xor_b32 s24, exec_lo, s24
	s_cbranch_execz .LBB3_87
; %bb.73:                               ;   in Loop: Header=BB3_55 Depth=1
	v_add_nc_u32_e32 v4, s5, v41
	s_mov_b32 s31, -1
	s_mov_b32 s30, exec_lo
	s_waitcnt lgkmcnt(0)
	s_barrier
	buffer_gl0_inv
	v_cmpx_gt_i32_e64 s29, v4
	s_cbranch_execz .LBB3_84
; %bb.74:                               ;   in Loop: Header=BB3_55 Depth=1
	v_add_nc_u32_e32 v5, s5, v42
	v_mov_b32_e32 v6, v2
	s_mov_b32 s31, 0
                                        ; implicit-def: $sgpr33
                                        ; implicit-def: $sgpr36
                                        ; implicit-def: $sgpr35
	v_cmp_gt_i32_e32 vcc_lo, s29, v5
	s_branch .LBB3_77
.LBB3_75:                               ;   in Loop: Header=BB3_77 Depth=2
	s_or_b32 exec_lo, exec_lo, s38
	v_add_nc_u32_e32 v4, s28, v4
	v_subrev_nc_u32_e32 v6, s15, v6
	s_andn2_b32 s36, s36, exec_lo
	s_andn2_b32 s35, s35, exec_lo
	v_cmp_le_i32_e64 s5, s29, v4
	s_and_b32 s5, s5, exec_lo
	s_or_b32 s36, s36, s5
.LBB3_76:                               ;   in Loop: Header=BB3_77 Depth=2
	s_or_b32 exec_lo, exec_lo, s37
	s_xor_b32 s5, s35, -1
	s_and_b32 s37, exec_lo, s36
	s_or_b32 s31, s37, s31
	s_andn2_b32 s33, s33, exec_lo
	s_and_b32 s5, s5, exec_lo
	s_or_b32 s33, s33, s5
	s_andn2_b32 exec_lo, exec_lo, s31
	s_cbranch_execz .LBB3_83
.LBB3_77:                               ;   Parent Loop BB3_55 Depth=1
                                        ; =>  This Loop Header: Depth=2
                                        ;       Child Loop BB3_81 Depth 3
	s_or_b32 s35, s35, exec_lo
	s_or_b32 s36, s36, exec_lo
	s_mov_b32 s37, exec_lo
	v_cmpx_lt_i32_e32 -1, v4
	s_cbranch_execz .LBB3_76
; %bb.78:                               ;   in Loop: Header=BB3_77 Depth=2
	s_and_saveexec_b32 s38, vcc_lo
	s_cbranch_execz .LBB3_75
; %bb.79:                               ;   in Loop: Header=BB3_77 Depth=2
	s_waitcnt lgkmcnt(0)
	v_sub_nc_u32_e32 v7, s13, v4
	v_subrev_nc_u32_e32 v8, s17, v4
	v_mov_b32_e32 v10, v5
	s_mov_b32 s39, 0
	v_mul_lo_u32 v9, v7, v4
	v_lshl_add_u32 v7, v8, 2, s22
	ds_read_b32 v7, v7
	v_lshrrev_b32_e32 v8, 31, v9
	v_add_lshl_u32 v8, v9, v8, 1
	v_and_b32_e32 v9, -4, v8
	v_mov_b32_e32 v8, v0
	v_add_nc_u32_e32 v9, v6, v9
	s_branch .LBB3_81
	.p2align	6
.LBB3_80:                               ;   in Loop: Header=BB3_81 Depth=3
	s_or_b32 exec_lo, exec_lo, s45
	v_add_nc_u32_e32 v10, s40, v10
	v_add_nc_u32_e32 v8, s14, v8
	v_cmp_le_i32_e64 s5, s29, v10
	s_or_b32 s39, s5, s39
	s_andn2_b32 exec_lo, exec_lo, s39
	s_cbranch_execz .LBB3_75
.LBB3_81:                               ;   Parent Loop BB3_55 Depth=1
                                        ;     Parent Loop BB3_77 Depth=2
                                        ; =>    This Inner Loop Header: Depth=3
	s_mov_b32 s45, exec_lo
	v_cmpx_ge_i32_e64 v10, v4
	s_cbranch_execz .LBB3_80
; %bb.82:                               ;   in Loop: Header=BB3_81 Depth=3
	v_add_nc_u32_e32 v11, s21, v8
	v_add_nc_u32_e32 v12, v8, v9
	ds_read_b32 v11, v11 offset:4
	ds_read_b32 v13, v12
	s_waitcnt lgkmcnt(0)
	v_fma_f32 v11, -v7, v11, v13
	ds_write_b32 v12, v11
	s_branch .LBB3_80
.LBB3_83:                               ;   in Loop: Header=BB3_55 Depth=1
	s_or_b32 exec_lo, exec_lo, s31
	s_orn2_b32 s31, s33, exec_lo
.LBB3_84:                               ;   in Loop: Header=BB3_55 Depth=1
	s_or_b32 exec_lo, exec_lo, s30
	s_mov_b32 s5, s19
	s_and_saveexec_b32 s21, s31
	s_cbranch_execz .LBB3_86
; %bb.85:                               ;   in Loop: Header=BB3_55 Depth=1
	s_or_b32 s5, s19, exec_lo
	s_waitcnt lgkmcnt(0)
	s_barrier
	buffer_gl0_inv
.LBB3_86:                               ;   in Loop: Header=BB3_55 Depth=1
	s_or_b32 exec_lo, exec_lo, s21
	s_andn2_b32 s19, s19, exec_lo
	s_and_b32 s5, s5, exec_lo
	s_mov_b32 s30, exec_lo
	s_andn2_b32 s23, s23, exec_lo
	s_andn2_b32 s20, s20, exec_lo
	s_or_b32 s19, s19, s5
.LBB3_87:                               ;   in Loop: Header=BB3_55 Depth=1
	s_or_b32 exec_lo, exec_lo, s24
	s_mov_b32 s5, -1
	s_and_saveexec_b32 s21, s19
	s_cbranch_execz .LBB3_54
.LBB3_88:                               ;   in Loop: Header=BB3_55 Depth=1
	s_add_i32 s17, s17, 1
	s_cmp_eq_u32 s17, s29
	s_cselect_b32 s5, -1, 0
	s_xor_b32 s18, s18, -1
	s_andn2_b32 s30, s30, exec_lo
	s_or_b32 s5, s18, s5
	s_andn2_b32 s23, s23, exec_lo
	s_andn2_b32 s20, s20, exec_lo
	s_orn2_b32 s5, s5, exec_lo
	s_branch .LBB3_54
.LBB3_89:
	s_or_b32 exec_lo, exec_lo, s8
	s_mov_b32 s5, 0
	s_mov_b32 s36, -1
	s_mov_b32 s38, 0
	s_mov_b32 s37, 0
	s_and_saveexec_b32 s4, s16
	s_cbranch_execz .LBB3_93
; %bb.90:
	s_mov_b32 s7, -1
	s_mov_b32 s6, 0
	s_and_saveexec_b32 s8, s11
	s_xor_b32 s8, exec_lo, s8
; %bb.91:
	s_mov_b32 s6, exec_lo
	s_xor_b32 s7, exec_lo, -1
	s_and_b32 s5, s10, exec_lo
; %bb.92:
	s_or_b32 exec_lo, exec_lo, s8
	s_xor_b32 s36, exec_lo, -1
	s_and_b32 s37, s7, exec_lo
	s_and_b32 s38, s6, exec_lo
	;; [unrolled: 1-line block ×3, first 2 shown]
.LBB3_93:
	s_or_b32 exec_lo, exec_lo, s4
	s_mov_b32 s35, s41
	s_and_saveexec_b32 s39, s5
	s_cbranch_execnz .LBB3_95
	s_branch .LBB3_101
.LBB3_94:
	s_mov_b32 s5, -1
	s_mov_b32 s38, 0
	s_mov_b32 s37, 0
	;; [unrolled: 1-line block ×4, first 2 shown]
	s_and_saveexec_b32 s39, s5
	s_cbranch_execz .LBB3_101
.LBB3_95:
	s_mov_b32 s5, -1
	s_mov_b32 s35, 0
	s_and_b32 vcc_lo, exec_lo, s44
	s_mov_b32 s4, 0
	s_mov_b32 s45, s41
	s_waitcnt lgkmcnt(0)
	s_waitcnt_vscnt null, 0x0
	s_barrier
	buffer_gl0_inv
	s_cbranch_vccnz .LBB3_119
; %bb.96:
	s_and_b32 vcc_lo, exec_lo, s5
	s_cbranch_vccnz .LBB3_146
.LBB3_97:
	s_and_saveexec_b32 s5, s4
	s_cbranch_execnz .LBB3_159
.LBB3_98:
	s_or_b32 exec_lo, exec_lo, s5
	s_and_saveexec_b32 s4, s35
	s_xor_b32 s25, exec_lo, s4
	s_cbranch_execz .LBB3_100
.LBB3_99:
	s_add_u32 s8, s26, 48
	s_addc_u32 s9, s27, 0
	s_getpc_b64 s[4:5]
	s_add_u32 s4, s4, .str.9@rel32@lo+4
	s_addc_u32 s5, s5, .str.9@rel32@hi+12
	s_getpc_b64 s[6:7]
	s_add_u32 s6, s6, __PRETTY_FUNCTION__._ZN9rocsolver6v33100L9idx_lowerIiEET_S2_S2_S2_@rel32@lo+4
	s_addc_u32 s7, s7, __PRETTY_FUNCTION__._ZN9rocsolver6v33100L9idx_lowerIiEET_S2_S2_S2_@rel32@hi+12
	v_mov_b32_e32 v0, s4
	v_mov_b32_e32 v1, s5
	;; [unrolled: 1-line block ×5, first 2 shown]
	s_getpc_b64 s[10:11]
	s_add_u32 s10, s10, __assert_fail@rel32@lo+4
	s_addc_u32 s11, s11, __assert_fail@rel32@hi+12
	s_swappc_b64 s[30:31], s[10:11]
	s_or_b32 s45, s45, exec_lo
.LBB3_100:
	s_or_b32 exec_lo, exec_lo, s25
	s_andn2_b32 s4, s41, exec_lo
	s_and_b32 s5, s45, exec_lo
	s_andn2_b32 s38, s38, exec_lo
	s_or_b32 s35, s4, s5
.LBB3_101:
	s_or_b32 exec_lo, exec_lo, s39
	s_and_saveexec_b32 s4, s38
	s_xor_b32 s25, exec_lo, s4
	s_cbranch_execnz .LBB3_117
; %bb.102:
	s_or_b32 exec_lo, exec_lo, s25
	s_and_saveexec_b32 s4, s37
	s_xor_b32 s25, exec_lo, s4
	s_cbranch_execnz .LBB3_118
.LBB3_103:
	s_or_b32 exec_lo, exec_lo, s25
	s_and_saveexec_b32 s4, s36
	s_xor_b32 s25, exec_lo, s4
	s_cbranch_execz .LBB3_105
.LBB3_104:
	s_add_u32 s8, s26, 48
	s_addc_u32 s9, s27, 0
	s_getpc_b64 s[4:5]
	s_add_u32 s4, s4, .str.8@rel32@lo+4
	s_addc_u32 s5, s5, .str.8@rel32@hi+12
	s_getpc_b64 s[6:7]
	s_add_u32 s6, s6, __PRETTY_FUNCTION__._ZN9rocsolver6v33100L9idx_lowerIiEET_S2_S2_S2_@rel32@lo+4
	s_addc_u32 s7, s7, __PRETTY_FUNCTION__._ZN9rocsolver6v33100L9idx_lowerIiEET_S2_S2_S2_@rel32@hi+12
	v_mov_b32_e32 v0, s4
	v_mov_b32_e32 v1, s5
	;; [unrolled: 1-line block ×5, first 2 shown]
	s_getpc_b64 s[10:11]
	s_add_u32 s10, s10, __assert_fail@rel32@lo+4
	s_addc_u32 s11, s11, __assert_fail@rel32@hi+12
	s_swappc_b64 s[30:31], s[10:11]
	s_or_b32 s35, s35, exec_lo
.LBB3_105:
	s_or_b32 exec_lo, exec_lo, s25
	s_andn2_b32 s4, s41, exec_lo
	s_and_b32 s5, s35, exec_lo
	s_andn2_b32 s42, s42, exec_lo
	s_or_b32 s41, s4, s5
.LBB3_106:
	s_or_b32 exec_lo, exec_lo, s43
	s_and_saveexec_b32 s4, s42
	s_xor_b32 s25, exec_lo, s4
	s_cbranch_execz .LBB3_108
; %bb.107:
	s_add_u32 s8, s26, 48
	s_addc_u32 s9, s27, 0
	s_getpc_b64 s[4:5]
	s_add_u32 s4, s4, .str.9@rel32@lo+4
	s_addc_u32 s5, s5, .str.9@rel32@hi+12
	s_getpc_b64 s[6:7]
	s_add_u32 s6, s6, __PRETTY_FUNCTION__._ZN9rocsolver6v33100L9idx_lowerIiEET_S2_S2_S2_@rel32@lo+4
	s_addc_u32 s7, s7, __PRETTY_FUNCTION__._ZN9rocsolver6v33100L9idx_lowerIiEET_S2_S2_S2_@rel32@hi+12
	v_mov_b32_e32 v0, s4
	v_mov_b32_e32 v1, s5
	;; [unrolled: 1-line block ×5, first 2 shown]
	s_getpc_b64 s[10:11]
	s_add_u32 s10, s10, __assert_fail@rel32@lo+4
	s_addc_u32 s11, s11, __assert_fail@rel32@hi+12
	s_swappc_b64 s[30:31], s[10:11]
	s_or_b32 s41, s41, exec_lo
.LBB3_108:
	s_or_b32 exec_lo, exec_lo, s25
	s_branch .LBB3_110
.LBB3_109:
	s_add_u32 s8, s26, 48
	s_addc_u32 s9, s27, 0
	s_getpc_b64 s[4:5]
	s_add_u32 s4, s4, .str.4@rel32@lo+4
	s_addc_u32 s5, s5, .str.4@rel32@hi+12
	s_getpc_b64 s[6:7]
	s_add_u32 s6, s6, __PRETTY_FUNCTION__._ZN9rocsolver6v33100L18potf2_kernel_smallIfiiPKPfEEvbT0_T2_lS5_lPT1_@rel32@lo+4
	s_addc_u32 s7, s7, __PRETTY_FUNCTION__._ZN9rocsolver6v33100L18potf2_kernel_smallIfiiPKPfEEvbT0_T2_lS5_lPT1_@rel32@hi+12
	v_mov_b32_e32 v0, s4
	v_mov_b32_e32 v1, s5
	;; [unrolled: 1-line block ×5, first 2 shown]
	s_getpc_b64 s[10:11]
	s_add_u32 s10, s10, __assert_fail@rel32@lo+4
	s_addc_u32 s11, s11, __assert_fail@rel32@hi+12
	s_swappc_b64 s[30:31], s[10:11]
	s_or_b32 s41, s41, exec_lo
.LBB3_110:
	s_branch .LBB3_112
.LBB3_111:
	s_add_u32 s8, s26, 48
	s_addc_u32 s9, s27, 0
	s_getpc_b64 s[4:5]
	s_add_u32 s4, s4, .str.3@rel32@lo+4
	s_addc_u32 s5, s5, .str.3@rel32@hi+12
	s_getpc_b64 s[6:7]
	s_add_u32 s6, s6, __PRETTY_FUNCTION__._ZN9rocsolver6v33100L18potf2_kernel_smallIfiiPKPfEEvbT0_T2_lS5_lPT1_@rel32@lo+4
	s_addc_u32 s7, s7, __PRETTY_FUNCTION__._ZN9rocsolver6v33100L18potf2_kernel_smallIfiiPKPfEEvbT0_T2_lS5_lPT1_@rel32@hi+12
	v_mov_b32_e32 v0, s4
	v_mov_b32_e32 v1, s5
	;; [unrolled: 1-line block ×5, first 2 shown]
	s_getpc_b64 s[10:11]
	s_add_u32 s10, s10, __assert_fail@rel32@lo+4
	s_addc_u32 s11, s11, __assert_fail@rel32@hi+12
	s_swappc_b64 s[30:31], s[10:11]
	s_or_b32 s41, s41, exec_lo
.LBB3_112:
	s_branch .LBB3_114
.LBB3_113:
	s_add_u32 s8, s26, 48
	s_addc_u32 s9, s27, 0
	s_getpc_b64 s[4:5]
	s_add_u32 s4, s4, .str.2@rel32@lo+4
	s_addc_u32 s5, s5, .str.2@rel32@hi+12
	s_getpc_b64 s[6:7]
	s_add_u32 s6, s6, __PRETTY_FUNCTION__._ZN9rocsolver6v33100L18potf2_kernel_smallIfiiPKPfEEvbT0_T2_lS5_lPT1_@rel32@lo+4
	s_addc_u32 s7, s7, __PRETTY_FUNCTION__._ZN9rocsolver6v33100L18potf2_kernel_smallIfiiPKPfEEvbT0_T2_lS5_lPT1_@rel32@hi+12
	v_mov_b32_e32 v0, s4
	v_mov_b32_e32 v1, s5
	;; [unrolled: 1-line block ×5, first 2 shown]
	s_getpc_b64 s[10:11]
	s_add_u32 s10, s10, __assert_fail@rel32@lo+4
	s_addc_u32 s11, s11, __assert_fail@rel32@hi+12
	s_swappc_b64 s[30:31], s[10:11]
	s_or_b32 s41, s41, exec_lo
.LBB3_114:
	s_and_saveexec_b32 s4, s41
; %bb.115:
	; divergent unreachable
; %bb.116:
	s_endpgm
.LBB3_117:
	s_add_u32 s8, s26, 48
	s_addc_u32 s9, s27, 0
	s_getpc_b64 s[4:5]
	s_add_u32 s4, s4, .str.8@rel32@lo+4
	s_addc_u32 s5, s5, .str.8@rel32@hi+12
	s_getpc_b64 s[6:7]
	s_add_u32 s6, s6, __PRETTY_FUNCTION__._ZN9rocsolver6v33100L9idx_lowerIiEET_S2_S2_S2_@rel32@lo+4
	s_addc_u32 s7, s7, __PRETTY_FUNCTION__._ZN9rocsolver6v33100L9idx_lowerIiEET_S2_S2_S2_@rel32@hi+12
	v_mov_b32_e32 v0, s4
	v_mov_b32_e32 v1, s5
	;; [unrolled: 1-line block ×5, first 2 shown]
	s_getpc_b64 s[10:11]
	s_add_u32 s10, s10, __assert_fail@rel32@lo+4
	s_addc_u32 s11, s11, __assert_fail@rel32@hi+12
	s_swappc_b64 s[30:31], s[10:11]
	s_or_b32 s35, s35, exec_lo
	s_or_b32 exec_lo, exec_lo, s25
	s_and_saveexec_b32 s4, s37
	s_xor_b32 s25, exec_lo, s4
	s_cbranch_execz .LBB3_103
.LBB3_118:
	s_add_u32 s8, s26, 48
	s_addc_u32 s9, s27, 0
	s_getpc_b64 s[4:5]
	s_add_u32 s4, s4, .str.10@rel32@lo+4
	s_addc_u32 s5, s5, .str.10@rel32@hi+12
	s_getpc_b64 s[6:7]
	s_add_u32 s6, s6, __PRETTY_FUNCTION__._ZN9rocsolver6v33100L9idx_lowerIiEET_S2_S2_S2_@rel32@lo+4
	s_addc_u32 s7, s7, __PRETTY_FUNCTION__._ZN9rocsolver6v33100L9idx_lowerIiEET_S2_S2_S2_@rel32@hi+12
	v_mov_b32_e32 v0, s4
	v_mov_b32_e32 v1, s5
	;; [unrolled: 1-line block ×5, first 2 shown]
	s_getpc_b64 s[10:11]
	s_add_u32 s10, s10, __assert_fail@rel32@lo+4
	s_addc_u32 s11, s11, __assert_fail@rel32@hi+12
	s_swappc_b64 s[30:31], s[10:11]
	s_or_b32 s35, s35, exec_lo
	s_or_b32 exec_lo, exec_lo, s25
	s_and_saveexec_b32 s4, s36
	s_xor_b32 s25, exec_lo, s4
	s_cbranch_execnz .LBB3_104
	s_branch .LBB3_105
.LBB3_119:
	s_mov_b32 s4, -1
	s_mov_b32 s45, s41
	s_and_saveexec_b32 s44, s25
	s_cbranch_execz .LBB3_145
; %bb.120:
	v_add_nc_u32_e32 v2, v41, v42
	v_lshl_add_u32 v3, v42, 2, 0
	v_mov_b32_e32 v4, v41
	s_lshl_b32 s4, s29, 1
	s_mov_b32 s9, 0
	s_or_b32 s11, s4, 1
	s_lshl_b32 s12, s40, 2
                                        ; implicit-def: $sgpr10
                                        ; implicit-def: $sgpr8
                                        ; implicit-def: $sgpr7
                                        ; implicit-def: $sgpr13
	s_branch .LBB3_122
.LBB3_121:                              ;   in Loop: Header=BB3_122 Depth=1
	s_or_b32 exec_lo, exec_lo, s6
	s_xor_b32 s4, s14, -1
	s_xor_b32 s6, s15, -1
	s_and_b32 s5, exec_lo, s5
	s_or_b32 s9, s5, s9
	s_andn2_b32 s5, s7, exec_lo
	s_and_b32 s7, s13, exec_lo
	s_and_b32 s4, s4, exec_lo
	s_or_b32 s7, s5, s7
	s_andn2_b32 s5, s8, exec_lo
	s_andn2_b32 s10, s10, exec_lo
	s_and_b32 s6, s6, exec_lo
	s_or_b32 s8, s5, s4
	s_or_b32 s10, s10, s6
	s_andn2_b32 exec_lo, exec_lo, s9
	s_cbranch_execz .LBB3_134
.LBB3_122:                              ; =>This Loop Header: Depth=1
                                        ;     Child Loop BB3_127 Depth 2
	v_add_nc_u32_e32 v0, v4, v42
	s_mov_b32 s4, -1
	s_mov_b32 s16, exec_lo
                                        ; implicit-def: $sgpr15
                                        ; implicit-def: $sgpr14
                                        ; implicit-def: $sgpr17
	v_cmpx_gt_i32_e64 s29, v0
	s_cbranch_execz .LBB3_132
; %bb.123:                              ;   in Loop: Header=BB3_122 Depth=1
	v_sub_nc_u32_e32 v1, s11, v4
	v_mad_i64_i32 v[5:6], null, v4, s34, 0
	s_mov_b32 s18, 0
	v_cmp_lt_i32_e32 vcc_lo, -1, v4
	v_mul_lo_u32 v1, v1, v4
                                        ; implicit-def: $sgpr19
                                        ; implicit-def: $sgpr17
                                        ; implicit-def: $sgpr14
                                        ; implicit-def: $sgpr15
                                        ; implicit-def: $sgpr21
                                        ; implicit-def: $sgpr24
                                        ; implicit-def: $sgpr22
                                        ; implicit-def: $sgpr20
                                        ; implicit-def: $sgpr23
	v_lshlrev_b64 v[5:6], 2, v[5:6]
	v_lshrrev_b32_e32 v7, 31, v1
	v_add_co_u32 v5, s4, v44, v5
	v_add_co_ci_u32_e64 v6, null, v45, v6, s4
	v_add_lshl_u32 v1, v1, v7, 1
	v_cmp_ge_u32_e64 s4, v2, v4
	v_and_b32_e32 v1, -4, v1
	v_add_nc_u32_e32 v7, v3, v1
	s_branch .LBB3_127
.LBB3_124:                              ;   in Loop: Header=BB3_127 Depth=2
	s_or_b32 exec_lo, exec_lo, s33
	s_mov_b32 s5, exec_lo
	s_orn2_b32 s45, s45, exec_lo
	s_xor_b32 s33, exec_lo, -1
	s_orn2_b32 s6, s6, exec_lo
.LBB3_125:                              ;   in Loop: Header=BB3_127 Depth=2
	s_or_b32 exec_lo, exec_lo, s31
	s_andn2_b32 s23, s23, exec_lo
	s_and_b32 s31, s45, exec_lo
	s_andn2_b32 s22, s22, exec_lo
	s_or_b32 s23, s23, s31
	s_and_b32 s31, s33, exec_lo
	s_andn2_b32 s24, s24, exec_lo
	s_and_b32 s5, s5, exec_lo
	s_andn2_b32 s21, s21, exec_lo
	;; [unrolled: 2-line block ×3, first 2 shown]
	s_or_b32 s22, s22, s31
	s_or_b32 s24, s24, s5
	;; [unrolled: 1-line block ×3, first 2 shown]
.LBB3_126:                              ;   in Loop: Header=BB3_127 Depth=2
	s_or_b32 exec_lo, exec_lo, s30
	s_xor_b32 s5, s23, -1
	s_and_b32 s6, exec_lo, s21
	s_or_b32 s18, s6, s18
	s_andn2_b32 s6, s15, exec_lo
	s_and_b32 s15, s20, exec_lo
	s_andn2_b32 s14, s14, exec_lo
	s_and_b32 s30, s22, exec_lo
	s_or_b32 s15, s6, s15
	s_andn2_b32 s6, s17, exec_lo
	s_and_b32 s17, s24, exec_lo
	s_andn2_b32 s19, s19, exec_lo
	s_and_b32 s5, s5, exec_lo
	s_or_b32 s14, s14, s30
	s_or_b32 s17, s6, s17
	;; [unrolled: 1-line block ×3, first 2 shown]
	s_andn2_b32 exec_lo, exec_lo, s18
	s_cbranch_execz .LBB3_131
.LBB3_127:                              ;   Parent Loop BB3_122 Depth=1
                                        ; =>  This Inner Loop Header: Depth=2
	s_or_b32 s23, s23, exec_lo
	s_or_b32 s20, s20, exec_lo
	s_andn2_b32 s22, s22, exec_lo
	s_andn2_b32 s24, s24, exec_lo
	s_or_b32 s21, s21, exec_lo
	s_mov_b32 s30, exec_lo
	v_cmpx_lt_i32_e32 -1, v0
	s_cbranch_execz .LBB3_126
; %bb.128:                              ;   in Loop: Header=BB3_127 Depth=2
	s_mov_b32 s5, 0
	s_mov_b32 s6, -1
	s_mov_b32 s33, -1
	;; [unrolled: 1-line block ×3, first 2 shown]
	s_and_saveexec_b32 s31, vcc_lo
	s_cbranch_execz .LBB3_125
; %bb.129:                              ;   in Loop: Header=BB3_127 Depth=2
	s_and_saveexec_b32 s33, s4
	s_cbranch_execz .LBB3_124
; %bb.130:                              ;   in Loop: Header=BB3_127 Depth=2
	ds_read_b32 v10, v7
	v_ashrrev_i32_e32 v1, 31, v0
	v_add_nc_u32_e32 v7, s12, v7
	s_xor_b32 s45, exec_lo, -1
	v_lshlrev_b64 v[8:9], 2, v[0:1]
	v_add_nc_u32_e32 v0, s40, v0
	v_cmp_le_i32_e64 s5, s29, v0
	v_add_co_u32 v8, s6, v5, v8
	v_add_co_ci_u32_e64 v9, null, v6, v9, s6
	s_orn2_b32 s6, s5, exec_lo
	s_waitcnt lgkmcnt(0)
	flat_store_dword v[8:9], v10
	s_branch .LBB3_124
.LBB3_131:                              ;   in Loop: Header=BB3_122 Depth=1
	s_or_b32 exec_lo, exec_lo, s18
	s_orn2_b32 s4, s19, exec_lo
.LBB3_132:                              ;   in Loop: Header=BB3_122 Depth=1
	s_or_b32 exec_lo, exec_lo, s16
	s_andn2_b32 s6, s13, exec_lo
	s_and_b32 s13, s17, exec_lo
	s_mov_b32 s5, -1
	s_or_b32 s13, s6, s13
	s_and_saveexec_b32 s6, s4
	s_cbranch_execz .LBB3_121
; %bb.133:                              ;   in Loop: Header=BB3_122 Depth=1
	v_add_nc_u32_e32 v4, s28, v4
	v_add_nc_u32_e32 v2, s28, v2
	s_andn2_b32 s13, s13, exec_lo
	s_andn2_b32 s14, s14, exec_lo
	;; [unrolled: 1-line block ×3, first 2 shown]
	v_cmp_le_i32_e32 vcc_lo, s29, v4
	s_orn2_b32 s5, vcc_lo, exec_lo
	s_branch .LBB3_121
.LBB3_134:
	s_or_b32 exec_lo, exec_lo, s9
	s_mov_b32 s46, 0
	s_mov_b32 s48, s41
	s_and_saveexec_b32 s4, s10
	s_xor_b32 s45, exec_lo, s4
	s_cbranch_execz .LBB3_142
; %bb.135:
	s_mov_b32 s47, 0
	s_mov_b32 s48, s41
	s_and_saveexec_b32 s4, s8
	s_xor_b32 s46, exec_lo, s4
	s_cbranch_execz .LBB3_139
; %bb.136:
	s_mov_b32 s4, -1
	s_mov_b32 s5, s41
	s_and_saveexec_b32 s6, s7
	s_xor_b32 s47, exec_lo, s6
	s_cbranch_execz .LBB3_138
; %bb.137:
	s_add_u32 s8, s26, 48
	s_addc_u32 s9, s27, 0
	s_getpc_b64 s[4:5]
	s_add_u32 s4, s4, .str.10@rel32@lo+4
	s_addc_u32 s5, s5, .str.10@rel32@hi+12
	s_getpc_b64 s[6:7]
	s_add_u32 s6, s6, __PRETTY_FUNCTION__._ZN9rocsolver6v33100L9idx_lowerIiEET_S2_S2_S2_@rel32@lo+4
	s_addc_u32 s7, s7, __PRETTY_FUNCTION__._ZN9rocsolver6v33100L9idx_lowerIiEET_S2_S2_S2_@rel32@hi+12
	v_mov_b32_e32 v0, s4
	v_mov_b32_e32 v1, s5
	;; [unrolled: 1-line block ×5, first 2 shown]
	s_getpc_b64 s[10:11]
	s_add_u32 s10, s10, __assert_fail@rel32@lo+4
	s_addc_u32 s11, s11, __assert_fail@rel32@hi+12
	s_swappc_b64 s[30:31], s[10:11]
	s_or_b32 s5, s41, exec_lo
	s_xor_b32 s4, exec_lo, -1
.LBB3_138:
	s_or_b32 exec_lo, exec_lo, s47
	s_andn2_b32 s6, s41, exec_lo
	s_and_b32 s5, s5, exec_lo
	s_and_b32 s47, s4, exec_lo
	s_or_b32 s48, s6, s5
.LBB3_139:
	s_andn2_saveexec_b32 s46, s46
	s_cbranch_execz .LBB3_141
; %bb.140:
	s_add_u32 s8, s26, 48
	s_addc_u32 s9, s27, 0
	s_getpc_b64 s[4:5]
	s_add_u32 s4, s4, .str.9@rel32@lo+4
	s_addc_u32 s5, s5, .str.9@rel32@hi+12
	s_getpc_b64 s[6:7]
	s_add_u32 s6, s6, __PRETTY_FUNCTION__._ZN9rocsolver6v33100L9idx_lowerIiEET_S2_S2_S2_@rel32@lo+4
	s_addc_u32 s7, s7, __PRETTY_FUNCTION__._ZN9rocsolver6v33100L9idx_lowerIiEET_S2_S2_S2_@rel32@hi+12
	v_mov_b32_e32 v0, s4
	v_mov_b32_e32 v1, s5
	;; [unrolled: 1-line block ×5, first 2 shown]
	s_getpc_b64 s[10:11]
	s_add_u32 s10, s10, __assert_fail@rel32@lo+4
	s_addc_u32 s11, s11, __assert_fail@rel32@hi+12
	s_swappc_b64 s[30:31], s[10:11]
	s_or_b32 s48, s48, exec_lo
.LBB3_141:
	s_or_b32 exec_lo, exec_lo, s46
	s_andn2_b32 s4, s41, exec_lo
	s_and_b32 s5, s48, exec_lo
	s_and_b32 s46, s47, exec_lo
	s_or_b32 s48, s4, s5
.LBB3_142:
	s_andn2_saveexec_b32 s45, s45
	s_cbranch_execz .LBB3_144
; %bb.143:
	s_add_u32 s8, s26, 48
	s_addc_u32 s9, s27, 0
	s_getpc_b64 s[4:5]
	s_add_u32 s4, s4, .str.8@rel32@lo+4
	s_addc_u32 s5, s5, .str.8@rel32@hi+12
	s_getpc_b64 s[6:7]
	s_add_u32 s6, s6, __PRETTY_FUNCTION__._ZN9rocsolver6v33100L9idx_lowerIiEET_S2_S2_S2_@rel32@lo+4
	s_addc_u32 s7, s7, __PRETTY_FUNCTION__._ZN9rocsolver6v33100L9idx_lowerIiEET_S2_S2_S2_@rel32@hi+12
	v_mov_b32_e32 v0, s4
	v_mov_b32_e32 v1, s5
	;; [unrolled: 1-line block ×5, first 2 shown]
	s_getpc_b64 s[10:11]
	s_add_u32 s10, s10, __assert_fail@rel32@lo+4
	s_addc_u32 s11, s11, __assert_fail@rel32@hi+12
	s_swappc_b64 s[30:31], s[10:11]
	s_or_b32 s48, s48, exec_lo
.LBB3_144:
	s_or_b32 exec_lo, exec_lo, s45
	s_andn2_b32 s4, s41, exec_lo
	s_and_b32 s5, s48, exec_lo
	s_or_b32 s45, s4, s5
	s_orn2_b32 s4, s46, exec_lo
.LBB3_145:
	s_or_b32 exec_lo, exec_lo, s44
	s_branch .LBB3_97
.LBB3_146:
	s_mov_b32 s4, -1
	s_mov_b32 s35, 0
	s_and_saveexec_b32 s5, s25
	s_cbranch_execz .LBB3_158
; %bb.147:
	v_lshlrev_b32_e32 v0, 2, v41
	v_lshlrev_b32_e32 v1, 2, v42
	s_lshl_b32 s4, s29, 1
	s_ashr_i32 s35, s34, 31
	v_sub_nc_u32_e32 v2, s4, v42
	s_lshl_b32 s9, s40, 2
	v_sub_nc_u32_e32 v0, v0, v1
	s_mov_b32 s8, 0
	s_lshl_b32 s10, s28, 2
	v_add_nc_u32_e32 v4, 1, v2
	s_sub_i32 s11, 0, s9
	v_add_nc_u32_e32 v5, 0, v0
	v_add_co_u32 v0, vcc_lo, v44, v1
	v_add_co_ci_u32_e64 v1, null, 0, v45, vcc_lo
	s_lshl_b64 s[6:7], s[34:35], 2
                                        ; implicit-def: $sgpr12
	s_branch .LBB3_149
.LBB3_148:                              ;   in Loop: Header=BB3_149 Depth=1
	s_or_b32 exec_lo, exec_lo, s14
	s_xor_b32 s13, s13, -1
	s_and_b32 s4, exec_lo, s4
	s_or_b32 s8, s4, s8
	s_andn2_b32 s4, s12, exec_lo
	s_and_b32 s12, s13, exec_lo
	s_or_b32 s12, s4, s12
	s_andn2_b32 exec_lo, exec_lo, s8
	s_cbranch_execz .LBB3_157
.LBB3_149:                              ; =>This Loop Header: Depth=1
                                        ;     Child Loop BB3_152 Depth 2
	s_mov_b32 s15, -1
	s_mov_b32 s13, exec_lo
	v_cmpx_le_i32_e64 v42, v41
	s_cbranch_execz .LBB3_155
; %bb.150:                              ;   in Loop: Header=BB3_149 Depth=1
	v_mad_u64_u32 v[2:3], null, s6, v41, v[0:1]
	v_mov_b32_e32 v6, v4
	v_mov_b32_e32 v7, v5
	s_mov_b32 s14, 0
                                        ; implicit-def: $sgpr15
                                        ; implicit-def: $sgpr17
                                        ; implicit-def: $sgpr16
	v_mad_u64_u32 v[8:9], null, s7, v41, v[3:4]
	v_mov_b32_e32 v3, v8
	v_mov_b32_e32 v8, v42
	s_inst_prefetch 0x1
	s_branch .LBB3_152
	.p2align	6
.LBB3_151:                              ;   in Loop: Header=BB3_152 Depth=2
	s_or_b32 exec_lo, exec_lo, s18
	s_xor_b32 s4, s16, -1
	s_and_b32 s18, exec_lo, s17
	s_or_b32 s14, s18, s14
	s_andn2_b32 s15, s15, exec_lo
	s_and_b32 s4, s4, exec_lo
	s_or_b32 s15, s15, s4
	s_andn2_b32 exec_lo, exec_lo, s14
	s_cbranch_execz .LBB3_154
.LBB3_152:                              ;   Parent Loop BB3_149 Depth=1
                                        ; =>  This Inner Loop Header: Depth=2
	s_or_b32 s16, s16, exec_lo
	s_or_b32 s17, s17, exec_lo
	s_mov_b32 s18, exec_lo
	v_cmpx_lt_i32_e32 -1, v8
	s_cbranch_execz .LBB3_151
; %bb.153:                              ;   in Loop: Header=BB3_152 Depth=2
	v_mul_lo_u32 v9, v6, v8
	v_add_nc_u32_e32 v8, s40, v8
	v_subrev_nc_u32_e32 v6, s40, v6
	s_andn2_b32 s16, s16, exec_lo
	v_cmp_gt_i32_e32 vcc_lo, v8, v41
	v_lshrrev_b32_e32 v10, 31, v9
	v_add_lshl_u32 v9, v9, v10, 1
	v_and_b32_e32 v9, -4, v9
	v_add_nc_u32_e32 v9, v7, v9
	v_add_nc_u32_e32 v7, s11, v7
	ds_read_b32 v9, v9
	s_waitcnt lgkmcnt(0)
	flat_store_dword v[2:3], v9
	v_add_co_u32 v2, s4, v2, s9
	v_add_co_ci_u32_e64 v3, null, 0, v3, s4
	s_andn2_b32 s4, s17, exec_lo
	s_and_b32 s17, vcc_lo, exec_lo
	s_or_b32 s17, s4, s17
	s_branch .LBB3_151
.LBB3_154:                              ;   in Loop: Header=BB3_149 Depth=1
	s_inst_prefetch 0x2
	s_or_b32 exec_lo, exec_lo, s14
	s_orn2_b32 s15, s15, exec_lo
.LBB3_155:                              ;   in Loop: Header=BB3_149 Depth=1
	s_or_b32 exec_lo, exec_lo, s13
	s_mov_b32 s4, -1
	s_mov_b32 s13, -1
	s_and_saveexec_b32 s14, s15
	s_cbranch_execz .LBB3_148
; %bb.156:                              ;   in Loop: Header=BB3_149 Depth=1
	v_add_nc_u32_e32 v41, s28, v41
	v_add_nc_u32_e32 v5, s10, v5
	s_xor_b32 s13, exec_lo, -1
	v_cmp_le_i32_e32 vcc_lo, s29, v41
	s_orn2_b32 s4, vcc_lo, exec_lo
	s_branch .LBB3_148
.LBB3_157:
	s_or_b32 exec_lo, exec_lo, s8
	s_mov_b32 s35, exec_lo
	s_orn2_b32 s4, s12, exec_lo
.LBB3_158:
	s_or_b32 exec_lo, exec_lo, s5
	s_and_saveexec_b32 s5, s4
	s_cbranch_execz .LBB3_98
.LBB3_159:
	s_waitcnt lgkmcnt(0)
	s_waitcnt_vscnt null, 0x0
	s_barrier
	s_andn2_b32 s35, s35, exec_lo
	buffer_gl0_inv
	s_or_b32 exec_lo, exec_lo, s5
	s_and_saveexec_b32 s4, s35
	s_xor_b32 s25, exec_lo, s4
	s_cbranch_execnz .LBB3_99
	s_branch .LBB3_100
	.section	.rodata,"a",@progbits
	.p2align	6, 0x0
	.amdhsa_kernel _ZN9rocsolver6v33100L18potf2_kernel_smallIfiiPKPfEEvbT0_T2_lS5_lPT1_
		.amdhsa_group_segment_fixed_size 0
		.amdhsa_private_segment_fixed_size 64
		.amdhsa_kernarg_size 304
		.amdhsa_user_sgpr_count 8
		.amdhsa_user_sgpr_private_segment_buffer 1
		.amdhsa_user_sgpr_dispatch_ptr 0
		.amdhsa_user_sgpr_queue_ptr 0
		.amdhsa_user_sgpr_kernarg_segment_ptr 1
		.amdhsa_user_sgpr_dispatch_id 0
		.amdhsa_user_sgpr_flat_scratch_init 1
		.amdhsa_user_sgpr_private_segment_size 0
		.amdhsa_wavefront_size32 1
		.amdhsa_uses_dynamic_stack 0
		.amdhsa_system_sgpr_private_segment_wavefront_offset 1
		.amdhsa_system_sgpr_workgroup_id_x 1
		.amdhsa_system_sgpr_workgroup_id_y 0
		.amdhsa_system_sgpr_workgroup_id_z 1
		.amdhsa_system_sgpr_workgroup_info 0
		.amdhsa_system_vgpr_workitem_id 2
		.amdhsa_next_free_vgpr 50
		.amdhsa_next_free_sgpr 49
		.amdhsa_reserve_vcc 1
		.amdhsa_reserve_flat_scratch 1
		.amdhsa_float_round_mode_32 0
		.amdhsa_float_round_mode_16_64 0
		.amdhsa_float_denorm_mode_32 3
		.amdhsa_float_denorm_mode_16_64 3
		.amdhsa_dx10_clamp 1
		.amdhsa_ieee_mode 1
		.amdhsa_fp16_overflow 0
		.amdhsa_workgroup_processor_mode 1
		.amdhsa_memory_ordered 1
		.amdhsa_forward_progress 1
		.amdhsa_shared_vgpr_count 0
		.amdhsa_exception_fp_ieee_invalid_op 0
		.amdhsa_exception_fp_denorm_src 0
		.amdhsa_exception_fp_ieee_div_zero 0
		.amdhsa_exception_fp_ieee_overflow 0
		.amdhsa_exception_fp_ieee_underflow 0
		.amdhsa_exception_fp_ieee_inexact 0
		.amdhsa_exception_int_div_zero 0
	.end_amdhsa_kernel
	.section	.text._ZN9rocsolver6v33100L18potf2_kernel_smallIfiiPKPfEEvbT0_T2_lS5_lPT1_,"axG",@progbits,_ZN9rocsolver6v33100L18potf2_kernel_smallIfiiPKPfEEvbT0_T2_lS5_lPT1_,comdat
.Lfunc_end3:
	.size	_ZN9rocsolver6v33100L18potf2_kernel_smallIfiiPKPfEEvbT0_T2_lS5_lPT1_, .Lfunc_end3-_ZN9rocsolver6v33100L18potf2_kernel_smallIfiiPKPfEEvbT0_T2_lS5_lPT1_
                                        ; -- End function
	.set _ZN9rocsolver6v33100L18potf2_kernel_smallIfiiPKPfEEvbT0_T2_lS5_lPT1_.num_vgpr, max(46, .L__assert_fail.num_vgpr)
	.set _ZN9rocsolver6v33100L18potf2_kernel_smallIfiiPKPfEEvbT0_T2_lS5_lPT1_.num_agpr, max(0, .L__assert_fail.num_agpr)
	.set _ZN9rocsolver6v33100L18potf2_kernel_smallIfiiPKPfEEvbT0_T2_lS5_lPT1_.numbered_sgpr, max(49, .L__assert_fail.numbered_sgpr)
	.set _ZN9rocsolver6v33100L18potf2_kernel_smallIfiiPKPfEEvbT0_T2_lS5_lPT1_.num_named_barrier, max(0, .L__assert_fail.num_named_barrier)
	.set _ZN9rocsolver6v33100L18potf2_kernel_smallIfiiPKPfEEvbT0_T2_lS5_lPT1_.private_seg_size, 0+max(.L__assert_fail.private_seg_size)
	.set _ZN9rocsolver6v33100L18potf2_kernel_smallIfiiPKPfEEvbT0_T2_lS5_lPT1_.uses_vcc, or(1, .L__assert_fail.uses_vcc)
	.set _ZN9rocsolver6v33100L18potf2_kernel_smallIfiiPKPfEEvbT0_T2_lS5_lPT1_.uses_flat_scratch, or(1, .L__assert_fail.uses_flat_scratch)
	.set _ZN9rocsolver6v33100L18potf2_kernel_smallIfiiPKPfEEvbT0_T2_lS5_lPT1_.has_dyn_sized_stack, or(0, .L__assert_fail.has_dyn_sized_stack)
	.set _ZN9rocsolver6v33100L18potf2_kernel_smallIfiiPKPfEEvbT0_T2_lS5_lPT1_.has_recursion, or(0, .L__assert_fail.has_recursion)
	.set _ZN9rocsolver6v33100L18potf2_kernel_smallIfiiPKPfEEvbT0_T2_lS5_lPT1_.has_indirect_call, or(0, .L__assert_fail.has_indirect_call)
	.section	.AMDGPU.csdata,"",@progbits
; Kernel info:
; codeLenInByte = 5912
; TotalNumSgprs: 51
; NumVgprs: 50
; ScratchSize: 64
; MemoryBound: 0
; FloatMode: 240
; IeeeMode: 1
; LDSByteSize: 0 bytes/workgroup (compile time only)
; SGPRBlocks: 0
; VGPRBlocks: 6
; NumSGPRsForWavesPerEU: 51
; NumVGPRsForWavesPerEU: 50
; Occupancy: 16
; WaveLimiterHint : 1
; COMPUTE_PGM_RSRC2:SCRATCH_EN: 1
; COMPUTE_PGM_RSRC2:USER_SGPR: 8
; COMPUTE_PGM_RSRC2:TRAP_HANDLER: 0
; COMPUTE_PGM_RSRC2:TGID_X_EN: 1
; COMPUTE_PGM_RSRC2:TGID_Y_EN: 0
; COMPUTE_PGM_RSRC2:TGID_Z_EN: 1
; COMPUTE_PGM_RSRC2:TIDIG_COMP_CNT: 2
	.section	.text._ZN9rocsolver6v33100L18potf2_kernel_smallIfllPfEEvbT0_T2_lS3_lPT1_,"axG",@progbits,_ZN9rocsolver6v33100L18potf2_kernel_smallIfllPfEEvbT0_T2_lS3_lPT1_,comdat
	.globl	_ZN9rocsolver6v33100L18potf2_kernel_smallIfllPfEEvbT0_T2_lS3_lPT1_ ; -- Begin function _ZN9rocsolver6v33100L18potf2_kernel_smallIfllPfEEvbT0_T2_lS3_lPT1_
	.p2align	8
	.type	_ZN9rocsolver6v33100L18potf2_kernel_smallIfllPfEEvbT0_T2_lS3_lPT1_,@function
_ZN9rocsolver6v33100L18potf2_kernel_smallIfllPfEEvbT0_T2_lS3_lPT1_: ; @_ZN9rocsolver6v33100L18potf2_kernel_smallIfllPfEEvbT0_T2_lS3_lPT1_
; %bb.0:
	s_add_u32 s6, s6, s10
	s_mov_b32 s32, 0
	s_addc_u32 s7, s7, 0
	s_setreg_b32 hwreg(HW_REG_FLAT_SCR_LO), s6
	s_setreg_b32 hwreg(HW_REG_FLAT_SCR_HI), s7
	s_load_dwordx2 s[34:35], s[4:5], 0x44
	s_add_u32 s0, s0, s10
	v_mov_b32_e32 v45, v2
	v_mov_b32_e32 v41, v1
	;; [unrolled: 1-line block ×3, first 2 shown]
	s_addc_u32 s1, s1, 0
	s_mov_b64 s[26:27], s[4:5]
	s_mov_b32 s28, s9
	s_waitcnt lgkmcnt(0)
	s_and_b32 s4, s35, 0xffff
	s_cmp_eq_u32 s4, 1
	s_cbranch_scc1 .LBB4_2
; %bb.1:
	s_add_u32 s8, s26, 56
	s_addc_u32 s9, s27, 0
	s_getpc_b64 s[4:5]
	s_add_u32 s4, s4, .str@rel32@lo+4
	s_addc_u32 s5, s5, .str@rel32@hi+12
	s_getpc_b64 s[6:7]
	s_add_u32 s6, s6, __PRETTY_FUNCTION__._ZN9rocsolver6v33100L18potf2_kernel_smallIfllPfEEvbT0_T2_lS3_lPT1_@rel32@lo+4
	s_addc_u32 s7, s7, __PRETTY_FUNCTION__._ZN9rocsolver6v33100L18potf2_kernel_smallIfllPfEEvbT0_T2_lS3_lPT1_@rel32@hi+12
	v_mov_b32_e32 v0, s4
	v_mov_b32_e32 v1, s5
	;; [unrolled: 1-line block ×5, first 2 shown]
	s_getpc_b64 s[10:11]
	s_add_u32 s10, s10, __assert_fail@rel32@lo+4
	s_addc_u32 s11, s11, __assert_fail@rel32@hi+12
	s_swappc_b64 s[30:31], s[10:11]
	s_mov_b32 s35, -1
	s_cbranch_execz .LBB4_3
	s_branch .LBB4_93
.LBB4_2:
	s_mov_b32 s35, 0
.LBB4_3:
	s_load_dwordx8 s[36:43], s[26:27], 0x8
	s_waitcnt lgkmcnt(0)
	s_cmp_lg_u64 s[38:39], 0
	s_cbranch_scc0 .LBB4_18
; %bb.4:
	s_load_dwordx4 s[44:47], s[26:27], 0x28
	s_waitcnt lgkmcnt(0)
	s_cmp_lg_u64 s[46:47], 0
	s_cbranch_scc0 .LBB4_19
; %bb.5:
	s_cmp_lg_u64 s[38:39], 0
	s_cbranch_scc0 .LBB4_20
; %bb.6:
	s_load_dword s5, s[26:27], 0x0
	v_mov_b32_e32 v42, 0
	s_mov_b32 s29, 0
	s_mov_b32 s4, -1
	s_waitcnt lgkmcnt(0)
	s_waitcnt_vscnt null, 0x0
	s_barrier
	v_cmp_gt_i64_e64 s25, s[36:37], v[41:42]
	buffer_gl0_inv
	s_bitcmp1_b32 s5, 0
	s_cselect_b32 s5, -1, 0
	s_lshr_b32 s48, s34, 16
	s_xor_b32 s50, s5, -1
	s_and_b32 s34, s34, 0xffff
	s_and_b32 vcc_lo, exec_lo, s50
	s_cbranch_vccz .LBB4_21
; %bb.7:
	s_mov_b32 s5, -1
	s_and_saveexec_b32 s49, s25
	s_cbranch_execz .LBB4_25
; %bb.8:
	v_mad_u64_u32 v[2:3], null, s42, v41, 0
	v_mov_b32_e32 v1, 0
	s_mul_i32 s5, s45, s28
	s_mul_hi_u32 s9, s44, s28
	s_mul_i32 s4, s44, s28
	s_add_i32 s5, s9, s5
	s_lshl_b64 s[6:7], s[36:37], 1
	v_mov_b32_e32 v0, v3
	s_lshl_b64 s[10:11], s[40:41], 2
	s_lshl_b64 s[4:5], s[4:5], 2
	s_or_b32 s6, s6, 1
	s_add_u32 s9, s10, s4
	v_mad_u64_u32 v[3:4], null, s43, v41, v[0:1]
	s_addc_u32 s10, s11, s5
	v_add_lshl_u32 v4, v41, v43, 2
	s_lshl_b64 s[4:5], s[42:43], 2
	v_add_nc_u32_e32 v0, v41, v43
	s_add_u32 s4, s4, 4
	s_addc_u32 s5, s5, 0
	v_lshlrev_b64 v[2:3], 2, v[2:3]
	s_mul_i32 s5, s5, s48
	s_mov_b32 s8, 0
	s_mul_i32 s11, s4, s48
	s_lshl_b32 s12, s34, 2
                                        ; implicit-def: $sgpr13
	v_add_co_u32 v2, vcc_lo, s9, v2
	v_add_co_ci_u32_e64 v3, null, s10, v3, vcc_lo
	s_mul_hi_u32 s9, s4, s48
	v_add_co_u32 v2, vcc_lo, v2, v4
	v_add_co_ci_u32_e64 v3, null, 0, v3, vcc_lo
	v_mov_b32_e32 v4, v41
	v_add_co_u32 v2, vcc_lo, s38, v2
	v_add_co_ci_u32_e64 v3, null, s39, v3, vcc_lo
	v_mov_b32_e32 v5, v42
	s_add_i32 s10, s9, s5
                                        ; implicit-def: $sgpr9
	s_branch .LBB4_10
.LBB4_9:                                ;   in Loop: Header=BB4_10 Depth=1
	s_or_b32 exec_lo, exec_lo, s5
	s_and_b32 s4, exec_lo, s4
	s_or_b32 s8, s4, s8
	s_andn2_b32 s4, s9, exec_lo
	s_and_b32 s5, s13, exec_lo
	s_or_b32 s9, s4, s5
	s_andn2_b32 exec_lo, exec_lo, s8
	s_cbranch_execz .LBB4_22
.LBB4_10:                               ; =>This Loop Header: Depth=1
                                        ;     Child Loop BB4_13 Depth 2
	v_add_co_u32 v6, vcc_lo, v4, v43
	v_add_co_ci_u32_e64 v7, null, 0, v5, vcc_lo
	s_mov_b32 s15, -1
	s_mov_b32 s14, exec_lo
	v_cmpx_gt_i64_e64 s[36:37], v[6:7]
	s_cbranch_execz .LBB4_16
; %bb.11:                               ;   in Loop: Header=BB4_10 Depth=1
	v_sub_co_u32 v8, vcc_lo, s6, v4
	v_sub_co_ci_u32_e64 v9, null, s7, v5, vcc_lo
	s_mov_b32 s15, 0
	v_mul_lo_u32 v11, v8, v5
	v_cmp_ge_u64_e32 vcc_lo, v[0:1], v[4:5]
	v_mul_lo_u32 v10, v9, v4
	v_mad_u64_u32 v[8:9], null, v8, v4, 0
                                        ; implicit-def: $sgpr16
                                        ; implicit-def: $sgpr18
                                        ; implicit-def: $sgpr17
	v_add3_u32 v9, v9, v11, v10
	v_lshrrev_b32_e32 v9, 31, v9
	v_add_nc_u32_e32 v8, v8, v9
	v_lshrrev_b32_e32 v8, 1, v8
	v_add_nc_u32_e32 v8, v43, v8
	v_lshl_add_u32 v10, v8, 2, 0
	v_mov_b32_e32 v9, v3
	v_mov_b32_e32 v8, v2
	s_inst_prefetch 0x1
	s_branch .LBB4_13
	.p2align	6
.LBB4_12:                               ;   in Loop: Header=BB4_13 Depth=2
	s_or_b32 exec_lo, exec_lo, s19
	s_xor_b32 s4, s17, -1
	s_and_b32 s5, exec_lo, s18
	s_or_b32 s15, s5, s15
	s_andn2_b32 s5, s16, exec_lo
	s_and_b32 s4, s4, exec_lo
	s_or_b32 s16, s5, s4
	s_andn2_b32 exec_lo, exec_lo, s15
	s_cbranch_execz .LBB4_15
.LBB4_13:                               ;   Parent Loop BB4_10 Depth=1
                                        ; =>  This Inner Loop Header: Depth=2
	s_or_b32 s17, s17, exec_lo
	s_or_b32 s18, s18, exec_lo
	s_and_saveexec_b32 s19, vcc_lo
	s_cbranch_execz .LBB4_12
; %bb.14:                               ;   in Loop: Header=BB4_13 Depth=2
	global_load_dword v11, v[8:9], off
	v_add_co_u32 v6, s4, v6, s34
	v_add_co_ci_u32_e64 v7, null, 0, v7, s4
	v_add_co_u32 v8, s5, v8, s12
	v_add_co_ci_u32_e64 v9, null, 0, v9, s5
	v_cmp_le_i64_e64 s4, s[36:37], v[6:7]
	s_andn2_b32 s5, s18, exec_lo
	s_andn2_b32 s17, s17, exec_lo
	s_and_b32 s4, s4, exec_lo
	s_or_b32 s18, s5, s4
	s_waitcnt vmcnt(0)
	ds_write_b32 v10, v11
	v_add_nc_u32_e32 v10, s12, v10
	s_branch .LBB4_12
.LBB4_15:                               ;   in Loop: Header=BB4_10 Depth=1
	s_inst_prefetch 0x2
	s_or_b32 exec_lo, exec_lo, s15
	s_orn2_b32 s15, s16, exec_lo
.LBB4_16:                               ;   in Loop: Header=BB4_10 Depth=1
	s_or_b32 exec_lo, exec_lo, s14
	s_mov_b32 s4, -1
	s_or_b32 s13, s13, exec_lo
	s_and_saveexec_b32 s5, s15
	s_cbranch_execz .LBB4_9
; %bb.17:                               ;   in Loop: Header=BB4_10 Depth=1
	v_add_co_u32 v4, vcc_lo, v4, s48
	v_add_co_ci_u32_e64 v5, null, 0, v5, vcc_lo
	v_add_co_u32 v0, vcc_lo, v0, s48
	v_add_co_ci_u32_e64 v1, null, 0, v1, vcc_lo
	v_cmp_le_i64_e32 vcc_lo, s[36:37], v[4:5]
	v_add_co_u32 v2, s4, v2, s11
	v_add_co_ci_u32_e64 v3, null, s10, v3, s4
	s_andn2_b32 s13, s13, exec_lo
	s_orn2_b32 s4, vcc_lo, exec_lo
	s_branch .LBB4_9
.LBB4_18:
	s_cbranch_execnz .LBB4_92
	s_branch .LBB4_93
.LBB4_19:
	s_cbranch_execnz .LBB4_90
	s_branch .LBB4_91
.LBB4_20:
	s_cbranch_execnz .LBB4_88
	s_branch .LBB4_89
.LBB4_21:
	s_mov_b32 s5, s29
	s_and_b32 vcc_lo, exec_lo, s4
	s_cbranch_vccnz .LBB4_26
	s_branch .LBB4_33
.LBB4_22:
	s_or_b32 exec_lo, exec_lo, s8
	s_mov_b32 s4, -1
	s_mov_b32 s5, s35
	s_and_saveexec_b32 s6, s9
	s_xor_b32 s51, exec_lo, s6
	s_cbranch_execz .LBB4_24
; %bb.23:
	s_add_u32 s8, s26, 56
	s_addc_u32 s9, s27, 0
	s_getpc_b64 s[4:5]
	s_add_u32 s4, s4, .str.10@rel32@lo+4
	s_addc_u32 s5, s5, .str.10@rel32@hi+12
	s_getpc_b64 s[6:7]
	s_add_u32 s6, s6, __PRETTY_FUNCTION__._ZN9rocsolver6v33100L9idx_lowerIlEET_S2_S2_S2_@rel32@lo+4
	s_addc_u32 s7, s7, __PRETTY_FUNCTION__._ZN9rocsolver6v33100L9idx_lowerIlEET_S2_S2_S2_@rel32@hi+12
	v_mov_b32_e32 v0, s4
	v_mov_b32_e32 v1, s5
	;; [unrolled: 1-line block ×5, first 2 shown]
	s_getpc_b64 s[10:11]
	s_add_u32 s10, s10, __assert_fail@rel32@lo+4
	s_addc_u32 s11, s11, __assert_fail@rel32@hi+12
	s_swappc_b64 s[30:31], s[10:11]
	s_or_b32 s5, s35, exec_lo
	s_xor_b32 s4, exec_lo, -1
.LBB4_24:
	s_or_b32 exec_lo, exec_lo, s51
	s_andn2_b32 s6, s35, exec_lo
	s_and_b32 s5, s5, exec_lo
	s_or_b32 s35, s6, s5
	s_orn2_b32 s5, s4, exec_lo
.LBB4_25:
	s_or_b32 exec_lo, exec_lo, s49
	s_branch .LBB4_33
.LBB4_26:
	s_and_saveexec_b32 s5, s25
	s_cbranch_execz .LBB4_32
; %bb.27:
	v_mad_u64_u32 v[0:1], null, s42, v41, 0
	s_mul_i32 s4, s45, s28
	s_mul_hi_u32 s9, s44, s28
	s_lshl_b64 s[6:7], s[36:37], 1
	s_mul_i32 s8, s44, s28
	s_add_i32 s9, s9, s4
	s_lshl_b64 s[10:11], s[40:41], 2
	v_mad_u64_u32 v[1:2], null, s43, v41, v[1:2]
	s_lshl_b64 s[8:9], s[8:9], 2
	v_sub_co_u32 v3, s4, s6, v43
	v_sub_co_ci_u32_e64 v4, null, s7, 0, s4
	s_add_u32 s4, s10, s8
	v_lshlrev_b64 v[0:1], 2, v[0:1]
	v_lshlrev_b32_e32 v2, 2, v43
	s_addc_u32 s6, s11, s9
	s_mul_i32 s13, s43, s48
	s_mul_hi_u32 s14, s42, s48
	v_mov_b32_e32 v44, 0
	v_add_co_u32 v5, vcc_lo, s4, v0
	v_add_co_ci_u32_e64 v6, null, s6, v1, vcc_lo
	v_add_co_u32 v0, vcc_lo, v3, 1
	v_add_co_ci_u32_e64 v1, null, 0, v4, vcc_lo
	;; [unrolled: 2-line block ×3, first 2 shown]
	v_mov_b32_e32 v4, v41
	v_add_co_u32 v2, vcc_lo, s38, v2
	v_sub_nc_u32_e32 v12, v41, v43
	v_add_co_ci_u32_e64 v3, null, s39, v3, vcc_lo
	v_mov_b32_e32 v5, v42
	s_mul_i32 s12, s42, s48
	s_add_i32 s13, s14, s13
	s_mov_b32 s8, 0
	s_lshl_b64 s[6:7], s[12:13], 2
	s_lshl_b32 s9, s34, 2
	s_branch .LBB4_29
.LBB4_28:                               ;   in Loop: Header=BB4_29 Depth=1
	s_inst_prefetch 0x2
	s_or_b32 exec_lo, exec_lo, s10
	v_add_co_u32 v4, vcc_lo, v4, s48
	v_add_co_ci_u32_e64 v5, null, 0, v5, vcc_lo
	v_add_co_u32 v2, s4, v2, s6
	v_add_nc_u32_e32 v12, s48, v12
	v_cmp_le_i64_e32 vcc_lo, s[36:37], v[4:5]
	v_add_co_ci_u32_e64 v3, null, s7, v3, s4
	s_or_b32 s8, vcc_lo, s8
	s_andn2_b32 exec_lo, exec_lo, s8
	s_cbranch_execz .LBB4_32
.LBB4_29:                               ; =>This Loop Header: Depth=1
                                        ;     Child Loop BB4_31 Depth 2
	s_mov_b32 s10, exec_lo
	v_cmpx_ge_u64_e64 v[4:5], v[43:44]
	s_cbranch_execz .LBB4_28
; %bb.30:                               ;   in Loop: Header=BB4_29 Depth=1
	v_mov_b32_e32 v7, v3
	v_mov_b32_e32 v9, v1
	;; [unrolled: 1-line block ×7, first 2 shown]
	s_mov_b32 s11, 0
	s_inst_prefetch 0x1
	.p2align	6
.LBB4_31:                               ;   Parent Loop BB4_29 Depth=1
                                        ; =>  This Inner Loop Header: Depth=2
	global_load_dword v16, v[6:7], off
	v_mul_lo_u32 v17, v9, v10
	v_mul_lo_u32 v18, v8, v11
	v_mad_u64_u32 v[14:15], null, v8, v10, 0
	v_add_co_u32 v10, vcc_lo, v10, s34
	v_add_co_ci_u32_e64 v11, null, 0, v11, vcc_lo
	v_sub_co_u32 v8, vcc_lo, v8, s34
	v_add3_u32 v15, v15, v18, v17
	v_cmp_gt_u64_e64 s4, v[10:11], v[4:5]
	v_subrev_co_ci_u32_e64 v9, null, 0, v9, vcc_lo
	v_add_co_u32 v6, vcc_lo, v6, s9
	v_lshrrev_b32_e32 v15, 31, v15
	v_add_co_ci_u32_e64 v7, null, 0, v7, vcc_lo
	s_or_b32 s11, s4, s11
	v_add_nc_u32_e32 v14, v14, v15
	v_lshrrev_b32_e32 v14, 1, v14
	v_add_nc_u32_e32 v14, v13, v14
	v_subrev_nc_u32_e32 v13, s34, v13
	v_lshl_add_u32 v14, v14, 2, 0
	s_waitcnt vmcnt(0)
	ds_write_b32 v14, v16
	s_andn2_b32 exec_lo, exec_lo, s11
	s_cbranch_execnz .LBB4_31
	s_branch .LBB4_28
.LBB4_32:
	s_or_b32 exec_lo, exec_lo, s5
	s_mov_b32 s5, -1
.LBB4_33:
	s_and_saveexec_b32 s49, s5
	s_cbranch_execz .LBB4_87
; %bb.34:
	v_cmp_lt_i64_e64 s4, s[36:37], 1
	s_waitcnt lgkmcnt(0)
	s_waitcnt_vscnt null, 0x0
	s_barrier
	buffer_gl0_inv
	s_and_b32 vcc_lo, exec_lo, s4
	s_cbranch_vccnz .LBB4_59
; %bb.35:
	s_mul_i32 s16, s48, s34
	v_mul_u32_u24_e32 v1, s34, v41
	v_mul_lo_u32 v0, s16, v45
	s_lshl_b64 s[4:5], s[28:29], 3
	v_mov_b32_e32 v6, 0
	s_add_u32 s6, s46, s4
	v_sub_nc_u32_e32 v8, v43, v41
	s_addc_u32 s7, s47, s5
	s_lshl_b64 s[8:9], s[36:37], 1
	s_lshl_b32 s17, s16, 2
	v_add3_u32 v7, v1, v43, v0
	s_or_b32 s8, s8, 1
	s_lshl_b32 s18, s34, 2
	s_mov_b64 s[12:13], 0
	s_mov_b64 s[10:11], 0
	v_cmp_eq_u32_e64 s4, 0, v7
	s_branch .LBB4_37
.LBB4_36:                               ;   in Loop: Header=BB4_37 Depth=1
	s_andn2_b32 vcc_lo, exec_lo, s5
	s_cbranch_vccz .LBB4_59
.LBB4_37:                               ; =>This Loop Header: Depth=1
                                        ;     Child Loop BB4_48 Depth 2
                                        ;     Child Loop BB4_52 Depth 2
                                        ;       Child Loop BB4_55 Depth 3
	s_add_u32 s5, s12, s8
	s_addc_u32 s13, s13, s9
	s_mul_i32 s14, s5, s11
	s_mul_hi_u32 s15, s5, s10
	s_mul_i32 s13, s13, s10
	s_add_i32 s14, s15, s14
	s_mul_i32 s5, s5, s10
	s_add_i32 s13, s14, s13
	s_lshr_b32 s14, s13, 31
	s_add_u32 s14, s5, s14
	s_addc_u32 s15, s13, 0
	s_ashr_i64 s[14:15], s[14:15], 1
	s_lshl_b32 s5, s14, 2
	s_add_i32 s15, s5, 0
	s_mov_b32 s5, -1
	v_mov_b32_e32 v0, s15
	ds_read_b32 v0, v0
	s_waitcnt lgkmcnt(0)
	v_cmp_class_f32_e64 s13, v0, 0x180
	s_and_b32 vcc_lo, exec_lo, s13
	s_cbranch_vccz .LBB4_40
; %bb.38:                               ;   in Loop: Header=BB4_37 Depth=1
	s_andn2_b32 vcc_lo, exec_lo, s5
	s_cbranch_vccz .LBB4_44
.LBB4_39:                               ;   in Loop: Header=BB4_37 Depth=1
	s_and_b32 vcc_lo, exec_lo, s13
	s_mov_b32 s5, -1
                                        ; implicit-def: $sgpr12_sgpr13
	s_cbranch_vccz .LBB4_36
	s_branch .LBB4_58
.LBB4_40:                               ;   in Loop: Header=BB4_37 Depth=1
	s_and_saveexec_b32 s5, s4
	s_cbranch_execz .LBB4_43
; %bb.41:                               ;   in Loop: Header=BB4_37 Depth=1
	global_load_dwordx2 v[1:2], v6, s[6:7]
	s_waitcnt vmcnt(0)
	v_cmp_ne_u64_e32 vcc_lo, 0, v[1:2]
	s_cbranch_vccnz .LBB4_43
; %bb.42:                               ;   in Loop: Header=BB4_37 Depth=1
	s_add_u32 s20, s10, 1
	s_addc_u32 s21, s11, 0
	v_mov_b32_e32 v1, s20
	v_mov_b32_e32 v2, s21
	global_store_dwordx2 v6, v[1:2], s[6:7]
.LBB4_43:                               ;   in Loop: Header=BB4_37 Depth=1
	s_or_b32 exec_lo, exec_lo, s5
	s_cbranch_execnz .LBB4_39
.LBB4_44:                               ;   in Loop: Header=BB4_37 Depth=1
	v_mul_f32_e32 v1, 0x4f800000, v0
	v_cmp_gt_f32_e32 vcc_lo, 0xf800000, v0
	v_cndmask_b32_e32 v0, v0, v1, vcc_lo
	v_sqrt_f32_e32 v1, v0
	v_add_nc_u32_e32 v2, -1, v1
	v_add_nc_u32_e32 v3, 1, v1
	v_fma_f32 v4, -v2, v1, v0
	v_fma_f32 v5, -v3, v1, v0
	v_cmp_ge_f32_e64 s5, 0, v4
	v_cndmask_b32_e64 v1, v1, v2, s5
	v_cmp_lt_f32_e64 s5, 0, v5
	v_cndmask_b32_e64 v1, v1, v3, s5
	v_mul_f32_e32 v2, 0x37800000, v1
	v_cndmask_b32_e32 v1, v1, v2, vcc_lo
	v_cmp_class_f32_e64 vcc_lo, v0, 0x260
	v_cndmask_b32_e32 v2, v1, v0, vcc_lo
	s_and_saveexec_b32 s5, s4
; %bb.45:                               ;   in Loop: Header=BB4_37 Depth=1
	v_mov_b32_e32 v0, s15
	ds_write_b32 v0, v2
; %bb.46:                               ;   in Loop: Header=BB4_37 Depth=1
	s_or_b32 exec_lo, exec_lo, s5
	s_add_u32 s5, s10, 1
	s_addc_u32 s19, s11, 0
	v_add_co_u32 v0, s15, s5, v7
	v_add_co_ci_u32_e64 v1, null, s19, 0, s15
	s_mov_b32 s15, exec_lo
	s_waitcnt lgkmcnt(0)
	s_waitcnt_vscnt null, 0x0
	s_barrier
	buffer_gl0_inv
	v_cmpx_gt_i64_e64 s[36:37], v[0:1]
	s_cbranch_execz .LBB4_49
; %bb.47:                               ;   in Loop: Header=BB4_37 Depth=1
	v_add_lshl_u32 v3, v7, s14, 2
	s_mov_b32 s20, 0
	v_add3_u32 v3, 0, 4, v3
	.p2align	6
.LBB4_48:                               ;   Parent Loop BB4_37 Depth=1
                                        ; =>  This Inner Loop Header: Depth=2
	ds_read_b32 v4, v3
	s_waitcnt lgkmcnt(0)
	v_div_scale_f32 v5, null, v2, v2, v4
	v_div_scale_f32 v11, vcc_lo, v4, v2, v4
	v_rcp_f32_e32 v9, v5
	v_fma_f32 v10, -v5, v9, 1.0
	v_fmac_f32_e32 v9, v10, v9
	v_mul_f32_e32 v10, v11, v9
	v_fma_f32 v12, -v5, v10, v11
	v_fmac_f32_e32 v10, v12, v9
	v_fma_f32 v5, -v5, v10, v11
	v_div_fmas_f32 v5, v5, v9, v10
	v_add_co_u32 v0, vcc_lo, v0, s16
	v_add_co_ci_u32_e64 v1, null, 0, v1, vcc_lo
	v_div_fixup_f32 v4, v5, v2, v4
	v_cmp_le_i64_e32 vcc_lo, s[36:37], v[0:1]
	ds_write_b32 v3, v4
	v_add_nc_u32_e32 v3, s17, v3
	s_or_b32 s20, vcc_lo, s20
	s_andn2_b32 exec_lo, exec_lo, s20
	s_cbranch_execnz .LBB4_48
.LBB4_49:                               ;   in Loop: Header=BB4_37 Depth=1
	s_or_b32 exec_lo, exec_lo, s15
	v_add_co_u32 v0, s15, s5, v41
	v_add_co_ci_u32_e64 v1, null, s19, 0, s15
	s_mov_b32 s15, exec_lo
	s_waitcnt lgkmcnt(0)
	s_barrier
	buffer_gl0_inv
	v_cmpx_gt_i64_e64 s[36:37], v[0:1]
	s_cbranch_execz .LBB4_57
; %bb.50:                               ;   in Loop: Header=BB4_37 Depth=1
	v_add_co_u32 v2, s5, s5, v43
	v_add_co_ci_u32_e64 v3, null, s19, 0, s5
	v_add_lshl_u32 v9, v43, s14, 2
	v_mov_b32_e32 v10, v8
	s_add_u32 s12, s14, s12
	s_mov_b32 s14, 0
	v_cmp_gt_i64_e32 vcc_lo, s[36:37], v[2:3]
	s_branch .LBB4_52
.LBB4_51:                               ;   in Loop: Header=BB4_52 Depth=2
	s_inst_prefetch 0x2
	s_or_b32 exec_lo, exec_lo, s19
	v_add_co_u32 v0, s5, v0, s48
	v_add_co_ci_u32_e64 v1, null, 0, v1, s5
	v_subrev_nc_u32_e32 v10, s48, v10
	v_cmp_le_i64_e64 s5, s[36:37], v[0:1]
	s_or_b32 s14, s5, s14
	s_andn2_b32 exec_lo, exec_lo, s14
	s_cbranch_execz .LBB4_57
.LBB4_52:                               ;   Parent Loop BB4_37 Depth=1
                                        ; =>  This Loop Header: Depth=2
                                        ;       Child Loop BB4_55 Depth 3
	s_and_saveexec_b32 s19, vcc_lo
	s_cbranch_execz .LBB4_51
; %bb.53:                               ;   in Loop: Header=BB4_52 Depth=2
	v_sub_co_u32 v4, s5, s8, v0
	v_sub_co_ci_u32_e64 v5, null, s9, v1, s5
	v_add_nc_u32_e32 v13, s12, v0
	v_mul_lo_u32 v12, v4, v1
	s_mov_b32 s20, 0
	s_waitcnt lgkmcnt(0)
	v_mul_lo_u32 v11, v5, v0
	v_mad_u64_u32 v[4:5], null, v4, v0, 0
	s_mov_b32 s21, 0
	v_add3_u32 v5, v5, v12, v11
	v_lshl_add_u32 v11, v13, 2, 0
	v_lshrrev_b32_e32 v5, 31, v5
	ds_read_b32 v11, v11
	v_add_nc_u32_e32 v4, v4, v5
	v_lshrrev_b32_e32 v4, 1, v4
	v_add_lshl_u32 v12, v10, v4, 2
	v_mov_b32_e32 v5, v3
	v_mov_b32_e32 v4, v2
	s_inst_prefetch 0x1
	s_branch .LBB4_55
	.p2align	6
.LBB4_54:                               ;   in Loop: Header=BB4_55 Depth=3
	s_or_b32 exec_lo, exec_lo, s22
	v_add_co_u32 v4, s5, v4, s34
	v_add_co_ci_u32_e64 v5, null, 0, v5, s5
	s_add_i32 s21, s21, s18
	v_cmp_le_i64_e64 s5, s[36:37], v[4:5]
	s_or_b32 s20, s5, s20
	s_andn2_b32 exec_lo, exec_lo, s20
	s_cbranch_execz .LBB4_51
.LBB4_55:                               ;   Parent Loop BB4_37 Depth=1
                                        ;     Parent Loop BB4_52 Depth=2
                                        ; =>    This Inner Loop Header: Depth=3
	s_mov_b32 s22, exec_lo
	v_cmpx_ge_u64_e64 v[4:5], v[0:1]
	s_cbranch_execz .LBB4_54
; %bb.56:                               ;   in Loop: Header=BB4_55 Depth=3
	v_add_nc_u32_e32 v13, s21, v9
	v_add_nc_u32_e32 v14, s21, v12
	ds_read_b32 v13, v13 offset:4
	ds_read_b32 v15, v14
	s_waitcnt lgkmcnt(0)
	v_fma_f32 v13, -v11, v13, v15
	ds_write_b32 v14, v13
	s_branch .LBB4_54
.LBB4_57:                               ;   in Loop: Header=BB4_37 Depth=1
	s_or_b32 exec_lo, exec_lo, s15
	s_waitcnt lgkmcnt(0)
	s_barrier
	buffer_gl0_inv
	s_and_b32 vcc_lo, exec_lo, s13
	s_mov_b32 s5, -1
                                        ; implicit-def: $sgpr12_sgpr13
	s_cbranch_vccz .LBB4_36
.LBB4_58:                               ;   in Loop: Header=BB4_37 Depth=1
	s_add_u32 s14, s10, 1
	s_addc_u32 s15, s11, 0
	s_not_b64 s[12:13], s[10:11]
	s_cmp_eq_u64 s[14:15], s[36:37]
	s_mov_b64 s[10:11], s[14:15]
	s_cselect_b32 s5, -1, 0
	s_branch .LBB4_36
.LBB4_59:
	s_andn2_b32 vcc_lo, exec_lo, s50
	s_waitcnt_vscnt null, 0x0
	s_barrier
	buffer_gl0_inv
	s_cbranch_vccnz .LBB4_71
; %bb.60:
	s_mov_b32 s4, -1
	s_mov_b32 s5, s35
	s_and_saveexec_b32 s29, s25
	s_cbranch_execz .LBB4_75
; %bb.61:
	v_mad_u64_u32 v[2:3], null, s42, v41, 0
	v_mov_b32_e32 v1, 0
	s_mul_i32 s5, s45, s28
	s_mul_hi_u32 s9, s44, s28
	s_mul_i32 s4, s44, s28
	s_add_i32 s5, s9, s5
	s_lshl_b64 s[6:7], s[36:37], 1
	v_mov_b32_e32 v0, v3
	s_lshl_b64 s[10:11], s[40:41], 2
	s_lshl_b64 s[4:5], s[4:5], 2
	s_or_b32 s6, s6, 1
	s_add_u32 s9, s10, s4
	v_mad_u64_u32 v[3:4], null, s43, v41, v[0:1]
	s_addc_u32 s10, s11, s5
	v_add_lshl_u32 v4, v41, v43, 2
	s_lshl_b64 s[4:5], s[42:43], 2
	v_add_nc_u32_e32 v0, v41, v43
	s_add_u32 s4, s4, 4
	s_addc_u32 s5, s5, 0
	v_lshlrev_b64 v[2:3], 2, v[2:3]
	s_mul_i32 s5, s5, s48
	s_mov_b32 s8, 0
	s_mul_i32 s11, s4, s48
	s_lshl_b32 s12, s34, 2
                                        ; implicit-def: $sgpr13
	v_add_co_u32 v2, vcc_lo, s9, v2
	v_add_co_ci_u32_e64 v3, null, s10, v3, vcc_lo
	s_mul_hi_u32 s9, s4, s48
	v_add_co_u32 v2, vcc_lo, v2, v4
	v_add_co_ci_u32_e64 v3, null, 0, v3, vcc_lo
	v_mov_b32_e32 v4, v41
	v_add_co_u32 v2, vcc_lo, s38, v2
	v_add_co_ci_u32_e64 v3, null, s39, v3, vcc_lo
	v_mov_b32_e32 v5, v42
	s_add_i32 s10, s9, s5
                                        ; implicit-def: $sgpr9
	s_branch .LBB4_63
.LBB4_62:                               ;   in Loop: Header=BB4_63 Depth=1
	s_or_b32 exec_lo, exec_lo, s5
	s_and_b32 s4, exec_lo, s4
	s_or_b32 s8, s4, s8
	s_andn2_b32 s4, s9, exec_lo
	s_and_b32 s5, s13, exec_lo
	s_or_b32 s9, s4, s5
	s_andn2_b32 exec_lo, exec_lo, s8
	s_cbranch_execz .LBB4_72
.LBB4_63:                               ; =>This Loop Header: Depth=1
                                        ;     Child Loop BB4_66 Depth 2
	v_add_co_u32 v6, vcc_lo, v4, v43
	v_add_co_ci_u32_e64 v7, null, 0, v5, vcc_lo
	s_mov_b32 s15, -1
	s_mov_b32 s14, exec_lo
	v_cmpx_gt_i64_e64 s[36:37], v[6:7]
	s_cbranch_execz .LBB4_69
; %bb.64:                               ;   in Loop: Header=BB4_63 Depth=1
	v_sub_co_u32 v8, vcc_lo, s6, v4
	v_sub_co_ci_u32_e64 v9, null, s7, v5, vcc_lo
	s_mov_b32 s15, 0
	v_mul_lo_u32 v11, v8, v5
	v_cmp_ge_u64_e32 vcc_lo, v[0:1], v[4:5]
	v_mul_lo_u32 v10, v9, v4
	v_mad_u64_u32 v[8:9], null, v8, v4, 0
                                        ; implicit-def: $sgpr16
                                        ; implicit-def: $sgpr18
                                        ; implicit-def: $sgpr17
	v_add3_u32 v9, v9, v11, v10
	v_lshrrev_b32_e32 v9, 31, v9
	v_add_nc_u32_e32 v8, v8, v9
	v_lshrrev_b32_e32 v8, 1, v8
	v_add_nc_u32_e32 v8, v43, v8
	v_lshl_add_u32 v10, v8, 2, 0
	v_mov_b32_e32 v9, v3
	v_mov_b32_e32 v8, v2
	s_inst_prefetch 0x1
	s_branch .LBB4_66
	.p2align	6
.LBB4_65:                               ;   in Loop: Header=BB4_66 Depth=2
	s_or_b32 exec_lo, exec_lo, s19
	s_xor_b32 s4, s17, -1
	s_and_b32 s5, exec_lo, s18
	s_or_b32 s15, s5, s15
	s_andn2_b32 s5, s16, exec_lo
	s_and_b32 s4, s4, exec_lo
	s_or_b32 s16, s5, s4
	s_andn2_b32 exec_lo, exec_lo, s15
	s_cbranch_execz .LBB4_68
.LBB4_66:                               ;   Parent Loop BB4_63 Depth=1
                                        ; =>  This Inner Loop Header: Depth=2
	s_or_b32 s17, s17, exec_lo
	s_or_b32 s18, s18, exec_lo
	s_and_saveexec_b32 s19, vcc_lo
	s_cbranch_execz .LBB4_65
; %bb.67:                               ;   in Loop: Header=BB4_66 Depth=2
	ds_read_b32 v11, v10
	v_add_co_u32 v6, s4, v6, s34
	v_add_co_ci_u32_e64 v7, null, 0, v7, s4
	v_add_nc_u32_e32 v10, s12, v10
	s_andn2_b32 s17, s17, exec_lo
	v_cmp_le_i64_e64 s4, s[36:37], v[6:7]
	s_and_b32 s4, s4, exec_lo
	s_waitcnt lgkmcnt(0)
	global_store_dword v[8:9], v11, off
	v_add_co_u32 v8, s5, v8, s12
	v_add_co_ci_u32_e64 v9, null, 0, v9, s5
	s_andn2_b32 s5, s18, exec_lo
	s_or_b32 s18, s5, s4
	s_branch .LBB4_65
.LBB4_68:                               ;   in Loop: Header=BB4_63 Depth=1
	s_inst_prefetch 0x2
	s_or_b32 exec_lo, exec_lo, s15
	s_orn2_b32 s15, s16, exec_lo
.LBB4_69:                               ;   in Loop: Header=BB4_63 Depth=1
	s_or_b32 exec_lo, exec_lo, s14
	s_mov_b32 s4, -1
	s_or_b32 s13, s13, exec_lo
	s_and_saveexec_b32 s5, s15
	s_cbranch_execz .LBB4_62
; %bb.70:                               ;   in Loop: Header=BB4_63 Depth=1
	v_add_co_u32 v4, vcc_lo, v4, s48
	v_add_co_ci_u32_e64 v5, null, 0, v5, vcc_lo
	v_add_co_u32 v0, vcc_lo, v0, s48
	v_add_co_ci_u32_e64 v1, null, 0, v1, vcc_lo
	v_cmp_le_i64_e32 vcc_lo, s[36:37], v[4:5]
	v_add_co_u32 v2, s4, v2, s11
	v_add_co_ci_u32_e64 v3, null, s10, v3, s4
	s_andn2_b32 s13, s13, exec_lo
	s_orn2_b32 s4, vcc_lo, exec_lo
	s_branch .LBB4_62
.LBB4_71:
	s_mov_b32 s6, -1
	s_mov_b32 s4, 0
	s_mov_b32 s5, s35
	s_branch .LBB4_76
.LBB4_72:
	s_or_b32 exec_lo, exec_lo, s8
	s_mov_b32 s4, -1
	s_mov_b32 s5, s35
	s_and_saveexec_b32 s6, s9
	s_xor_b32 s46, exec_lo, s6
	s_cbranch_execz .LBB4_74
; %bb.73:
	s_add_u32 s8, s26, 56
	s_addc_u32 s9, s27, 0
	s_getpc_b64 s[4:5]
	s_add_u32 s4, s4, .str.10@rel32@lo+4
	s_addc_u32 s5, s5, .str.10@rel32@hi+12
	s_getpc_b64 s[6:7]
	s_add_u32 s6, s6, __PRETTY_FUNCTION__._ZN9rocsolver6v33100L9idx_lowerIlEET_S2_S2_S2_@rel32@lo+4
	s_addc_u32 s7, s7, __PRETTY_FUNCTION__._ZN9rocsolver6v33100L9idx_lowerIlEET_S2_S2_S2_@rel32@hi+12
	v_mov_b32_e32 v0, s4
	v_mov_b32_e32 v1, s5
	;; [unrolled: 1-line block ×5, first 2 shown]
	s_getpc_b64 s[10:11]
	s_add_u32 s10, s10, __assert_fail@rel32@lo+4
	s_addc_u32 s11, s11, __assert_fail@rel32@hi+12
	s_swappc_b64 s[30:31], s[10:11]
	s_or_b32 s5, s35, exec_lo
	s_xor_b32 s4, exec_lo, -1
.LBB4_74:
	s_or_b32 exec_lo, exec_lo, s46
	s_andn2_b32 s6, s35, exec_lo
	s_and_b32 s5, s5, exec_lo
	s_orn2_b32 s4, s4, exec_lo
	s_or_b32 s5, s6, s5
.LBB4_75:
	s_or_b32 exec_lo, exec_lo, s29
	s_mov_b32 s6, 0
.LBB4_76:
	s_and_b32 vcc_lo, exec_lo, s6
	s_cbranch_vccz .LBB4_84
; %bb.77:
	s_and_saveexec_b32 s8, s25
	s_cbranch_execz .LBB4_83
; %bb.78:
	v_mad_u64_u32 v[0:1], null, s42, v41, 0
	s_mul_i32 s4, s45, s28
	s_mul_hi_u32 s9, s44, s28
	s_lshl_b64 s[6:7], s[36:37], 1
	s_mul_i32 s10, s44, s28
	s_add_i32 s11, s9, s4
	s_lshl_b64 s[12:13], s[40:41], 2
	v_mad_u64_u32 v[1:2], null, s43, v41, v[1:2]
	s_lshl_b64 s[10:11], s[10:11], 2
	v_sub_co_u32 v3, s6, s6, v43
	v_sub_co_ci_u32_e64 v4, null, s7, 0, s6
	s_add_u32 s6, s12, s10
	v_lshlrev_b64 v[0:1], 2, v[0:1]
	v_lshlrev_b32_e32 v2, 2, v43
	s_addc_u32 s7, s13, s11
	s_mul_i32 s14, s43, s48
	s_mul_hi_u32 s4, s42, s48
	v_mov_b32_e32 v44, 0
	v_add_co_u32 v5, vcc_lo, s6, v0
	v_add_co_ci_u32_e64 v6, null, s7, v1, vcc_lo
	v_add_co_u32 v0, vcc_lo, v3, 1
	v_add_co_ci_u32_e64 v1, null, 0, v4, vcc_lo
	;; [unrolled: 2-line block ×3, first 2 shown]
	v_sub_nc_u32_e32 v10, v41, v43
	v_add_co_u32 v2, vcc_lo, s38, v2
	v_add_co_ci_u32_e64 v3, null, s39, v3, vcc_lo
	s_add_i32 s7, s4, s14
	s_mul_i32 s6, s42, s48
	s_mov_b32 s9, 0
	s_lshl_b64 s[6:7], s[6:7], 2
	s_lshl_b32 s10, s34, 2
	s_branch .LBB4_80
.LBB4_79:                               ;   in Loop: Header=BB4_80 Depth=1
	s_inst_prefetch 0x2
	s_or_b32 exec_lo, exec_lo, s11
	v_add_co_u32 v41, vcc_lo, v41, s48
	v_add_co_ci_u32_e64 v42, null, 0, v42, vcc_lo
	v_add_co_u32 v2, s4, v2, s6
	v_add_nc_u32_e32 v10, s48, v10
	v_cmp_le_i64_e32 vcc_lo, s[36:37], v[41:42]
	v_add_co_ci_u32_e64 v3, null, s7, v3, s4
	s_or_b32 s9, vcc_lo, s9
	s_andn2_b32 exec_lo, exec_lo, s9
	s_cbranch_execz .LBB4_83
.LBB4_80:                               ; =>This Loop Header: Depth=1
                                        ;     Child Loop BB4_82 Depth 2
	s_mov_b32 s11, exec_lo
	v_cmpx_ge_u64_e64 v[41:42], v[43:44]
	s_cbranch_execz .LBB4_79
; %bb.81:                               ;   in Loop: Header=BB4_80 Depth=1
	v_mov_b32_e32 v5, v3
	v_mov_b32_e32 v7, v1
	;; [unrolled: 1-line block ×7, first 2 shown]
	s_mov_b32 s12, 0
	s_inst_prefetch 0x1
	.p2align	6
.LBB4_82:                               ;   Parent Loop BB4_80 Depth=1
                                        ; =>  This Inner Loop Header: Depth=2
	v_mul_lo_u32 v14, v7, v8
	v_mul_lo_u32 v15, v6, v9
	v_mad_u64_u32 v[12:13], null, v6, v8, 0
	v_add_co_u32 v8, vcc_lo, v8, s34
	v_add_co_ci_u32_e64 v9, null, 0, v9, vcc_lo
	v_sub_co_u32 v6, vcc_lo, v6, s34
	v_add3_u32 v13, v13, v15, v14
	v_subrev_co_ci_u32_e64 v7, null, 0, v7, vcc_lo
	v_cmp_gt_u64_e32 vcc_lo, v[8:9], v[41:42]
	v_lshrrev_b32_e32 v13, 31, v13
	s_or_b32 s12, vcc_lo, s12
	v_add_nc_u32_e32 v12, v12, v13
	v_lshrrev_b32_e32 v12, 1, v12
	v_add_nc_u32_e32 v12, v11, v12
	v_subrev_nc_u32_e32 v11, s34, v11
	v_lshl_add_u32 v12, v12, 2, 0
	ds_read_b32 v12, v12
	s_waitcnt lgkmcnt(0)
	global_store_dword v[4:5], v12, off
	v_add_co_u32 v4, s4, v4, s10
	v_add_co_ci_u32_e64 v5, null, 0, v5, s4
	s_andn2_b32 exec_lo, exec_lo, s12
	s_cbranch_execnz .LBB4_82
	s_branch .LBB4_79
.LBB4_83:
	s_or_b32 exec_lo, exec_lo, s8
	s_mov_b32 s4, -1
.LBB4_84:
	s_and_saveexec_b32 s6, s4
	s_xor_b32 s4, exec_lo, s6
	s_cbranch_execz .LBB4_86
; %bb.85:
	s_waitcnt_vscnt null, 0x0
	s_barrier
	buffer_gl0_inv
.LBB4_86:
	s_or_b32 exec_lo, exec_lo, s4
	s_andn2_b32 s4, s35, exec_lo
	s_and_b32 s5, s5, exec_lo
	s_or_b32 s35, s4, s5
.LBB4_87:
	s_or_b32 exec_lo, exec_lo, s49
	s_branch .LBB4_89
.LBB4_88:
	s_add_u32 s8, s26, 56
	s_addc_u32 s9, s27, 0
	s_getpc_b64 s[4:5]
	s_add_u32 s4, s4, .str.4@rel32@lo+4
	s_addc_u32 s5, s5, .str.4@rel32@hi+12
	s_getpc_b64 s[6:7]
	s_add_u32 s6, s6, __PRETTY_FUNCTION__._ZN9rocsolver6v33100L18potf2_kernel_smallIfllPfEEvbT0_T2_lS3_lPT1_@rel32@lo+4
	s_addc_u32 s7, s7, __PRETTY_FUNCTION__._ZN9rocsolver6v33100L18potf2_kernel_smallIfllPfEEvbT0_T2_lS3_lPT1_@rel32@hi+12
	v_mov_b32_e32 v0, s4
	v_mov_b32_e32 v1, s5
	;; [unrolled: 1-line block ×5, first 2 shown]
	s_getpc_b64 s[10:11]
	s_add_u32 s10, s10, __assert_fail@rel32@lo+4
	s_addc_u32 s11, s11, __assert_fail@rel32@hi+12
	s_swappc_b64 s[30:31], s[10:11]
	s_or_b32 s35, s35, exec_lo
.LBB4_89:
	s_branch .LBB4_91
.LBB4_90:
	s_add_u32 s8, s26, 56
	s_addc_u32 s9, s27, 0
	s_getpc_b64 s[4:5]
	s_add_u32 s4, s4, .str.3@rel32@lo+4
	s_addc_u32 s5, s5, .str.3@rel32@hi+12
	s_getpc_b64 s[6:7]
	s_add_u32 s6, s6, __PRETTY_FUNCTION__._ZN9rocsolver6v33100L18potf2_kernel_smallIfllPfEEvbT0_T2_lS3_lPT1_@rel32@lo+4
	s_addc_u32 s7, s7, __PRETTY_FUNCTION__._ZN9rocsolver6v33100L18potf2_kernel_smallIfllPfEEvbT0_T2_lS3_lPT1_@rel32@hi+12
	v_mov_b32_e32 v0, s4
	v_mov_b32_e32 v1, s5
	;; [unrolled: 1-line block ×5, first 2 shown]
	s_getpc_b64 s[10:11]
	s_add_u32 s10, s10, __assert_fail@rel32@lo+4
	s_addc_u32 s11, s11, __assert_fail@rel32@hi+12
	s_swappc_b64 s[30:31], s[10:11]
	s_or_b32 s35, s35, exec_lo
.LBB4_91:
	s_branch .LBB4_93
.LBB4_92:
	s_add_u32 s8, s26, 56
	s_addc_u32 s9, s27, 0
	s_getpc_b64 s[4:5]
	s_add_u32 s4, s4, .str.2@rel32@lo+4
	s_addc_u32 s5, s5, .str.2@rel32@hi+12
	s_getpc_b64 s[6:7]
	s_add_u32 s6, s6, __PRETTY_FUNCTION__._ZN9rocsolver6v33100L18potf2_kernel_smallIfllPfEEvbT0_T2_lS3_lPT1_@rel32@lo+4
	s_addc_u32 s7, s7, __PRETTY_FUNCTION__._ZN9rocsolver6v33100L18potf2_kernel_smallIfllPfEEvbT0_T2_lS3_lPT1_@rel32@hi+12
	v_mov_b32_e32 v0, s4
	v_mov_b32_e32 v1, s5
	;; [unrolled: 1-line block ×5, first 2 shown]
	s_getpc_b64 s[10:11]
	s_add_u32 s10, s10, __assert_fail@rel32@lo+4
	s_addc_u32 s11, s11, __assert_fail@rel32@hi+12
	s_swappc_b64 s[30:31], s[10:11]
	s_or_b32 s35, s35, exec_lo
.LBB4_93:
	s_and_saveexec_b32 s4, s35
; %bb.94:
	; divergent unreachable
; %bb.95:
	s_endpgm
	.section	.rodata,"a",@progbits
	.p2align	6, 0x0
	.amdhsa_kernel _ZN9rocsolver6v33100L18potf2_kernel_smallIfllPfEEvbT0_T2_lS3_lPT1_
		.amdhsa_group_segment_fixed_size 0
		.amdhsa_private_segment_fixed_size 64
		.amdhsa_kernarg_size 312
		.amdhsa_user_sgpr_count 8
		.amdhsa_user_sgpr_private_segment_buffer 1
		.amdhsa_user_sgpr_dispatch_ptr 0
		.amdhsa_user_sgpr_queue_ptr 0
		.amdhsa_user_sgpr_kernarg_segment_ptr 1
		.amdhsa_user_sgpr_dispatch_id 0
		.amdhsa_user_sgpr_flat_scratch_init 1
		.amdhsa_user_sgpr_private_segment_size 0
		.amdhsa_wavefront_size32 1
		.amdhsa_uses_dynamic_stack 0
		.amdhsa_system_sgpr_private_segment_wavefront_offset 1
		.amdhsa_system_sgpr_workgroup_id_x 1
		.amdhsa_system_sgpr_workgroup_id_y 0
		.amdhsa_system_sgpr_workgroup_id_z 1
		.amdhsa_system_sgpr_workgroup_info 0
		.amdhsa_system_vgpr_workitem_id 2
		.amdhsa_next_free_vgpr 50
		.amdhsa_next_free_sgpr 52
		.amdhsa_reserve_vcc 1
		.amdhsa_reserve_flat_scratch 1
		.amdhsa_float_round_mode_32 0
		.amdhsa_float_round_mode_16_64 0
		.amdhsa_float_denorm_mode_32 3
		.amdhsa_float_denorm_mode_16_64 3
		.amdhsa_dx10_clamp 1
		.amdhsa_ieee_mode 1
		.amdhsa_fp16_overflow 0
		.amdhsa_workgroup_processor_mode 1
		.amdhsa_memory_ordered 1
		.amdhsa_forward_progress 1
		.amdhsa_shared_vgpr_count 0
		.amdhsa_exception_fp_ieee_invalid_op 0
		.amdhsa_exception_fp_denorm_src 0
		.amdhsa_exception_fp_ieee_div_zero 0
		.amdhsa_exception_fp_ieee_overflow 0
		.amdhsa_exception_fp_ieee_underflow 0
		.amdhsa_exception_fp_ieee_inexact 0
		.amdhsa_exception_int_div_zero 0
	.end_amdhsa_kernel
	.section	.text._ZN9rocsolver6v33100L18potf2_kernel_smallIfllPfEEvbT0_T2_lS3_lPT1_,"axG",@progbits,_ZN9rocsolver6v33100L18potf2_kernel_smallIfllPfEEvbT0_T2_lS3_lPT1_,comdat
.Lfunc_end4:
	.size	_ZN9rocsolver6v33100L18potf2_kernel_smallIfllPfEEvbT0_T2_lS3_lPT1_, .Lfunc_end4-_ZN9rocsolver6v33100L18potf2_kernel_smallIfllPfEEvbT0_T2_lS3_lPT1_
                                        ; -- End function
	.set _ZN9rocsolver6v33100L18potf2_kernel_smallIfllPfEEvbT0_T2_lS3_lPT1_.num_vgpr, max(46, .L__assert_fail.num_vgpr)
	.set _ZN9rocsolver6v33100L18potf2_kernel_smallIfllPfEEvbT0_T2_lS3_lPT1_.num_agpr, max(0, .L__assert_fail.num_agpr)
	.set _ZN9rocsolver6v33100L18potf2_kernel_smallIfllPfEEvbT0_T2_lS3_lPT1_.numbered_sgpr, max(52, .L__assert_fail.numbered_sgpr)
	.set _ZN9rocsolver6v33100L18potf2_kernel_smallIfllPfEEvbT0_T2_lS3_lPT1_.num_named_barrier, max(0, .L__assert_fail.num_named_barrier)
	.set _ZN9rocsolver6v33100L18potf2_kernel_smallIfllPfEEvbT0_T2_lS3_lPT1_.private_seg_size, 0+max(.L__assert_fail.private_seg_size)
	.set _ZN9rocsolver6v33100L18potf2_kernel_smallIfllPfEEvbT0_T2_lS3_lPT1_.uses_vcc, or(1, .L__assert_fail.uses_vcc)
	.set _ZN9rocsolver6v33100L18potf2_kernel_smallIfllPfEEvbT0_T2_lS3_lPT1_.uses_flat_scratch, or(1, .L__assert_fail.uses_flat_scratch)
	.set _ZN9rocsolver6v33100L18potf2_kernel_smallIfllPfEEvbT0_T2_lS3_lPT1_.has_dyn_sized_stack, or(0, .L__assert_fail.has_dyn_sized_stack)
	.set _ZN9rocsolver6v33100L18potf2_kernel_smallIfllPfEEvbT0_T2_lS3_lPT1_.has_recursion, or(0, .L__assert_fail.has_recursion)
	.set _ZN9rocsolver6v33100L18potf2_kernel_smallIfllPfEEvbT0_T2_lS3_lPT1_.has_indirect_call, or(0, .L__assert_fail.has_indirect_call)
	.section	.AMDGPU.csdata,"",@progbits
; Kernel info:
; codeLenInByte = 4492
; TotalNumSgprs: 54
; NumVgprs: 50
; ScratchSize: 64
; MemoryBound: 1
; FloatMode: 240
; IeeeMode: 1
; LDSByteSize: 0 bytes/workgroup (compile time only)
; SGPRBlocks: 0
; VGPRBlocks: 6
; NumSGPRsForWavesPerEU: 54
; NumVGPRsForWavesPerEU: 50
; Occupancy: 16
; WaveLimiterHint : 1
; COMPUTE_PGM_RSRC2:SCRATCH_EN: 1
; COMPUTE_PGM_RSRC2:USER_SGPR: 8
; COMPUTE_PGM_RSRC2:TRAP_HANDLER: 0
; COMPUTE_PGM_RSRC2:TGID_X_EN: 1
; COMPUTE_PGM_RSRC2:TGID_Y_EN: 0
; COMPUTE_PGM_RSRC2:TGID_Z_EN: 1
; COMPUTE_PGM_RSRC2:TIDIG_COMP_CNT: 2
	.section	.text._ZN9rocsolver6v33100L18potf2_kernel_smallIfllPKPfEEvbT0_T2_lS5_lPT1_,"axG",@progbits,_ZN9rocsolver6v33100L18potf2_kernel_smallIfllPKPfEEvbT0_T2_lS5_lPT1_,comdat
	.globl	_ZN9rocsolver6v33100L18potf2_kernel_smallIfllPKPfEEvbT0_T2_lS5_lPT1_ ; -- Begin function _ZN9rocsolver6v33100L18potf2_kernel_smallIfllPKPfEEvbT0_T2_lS5_lPT1_
	.p2align	8
	.type	_ZN9rocsolver6v33100L18potf2_kernel_smallIfllPKPfEEvbT0_T2_lS5_lPT1_,@function
_ZN9rocsolver6v33100L18potf2_kernel_smallIfllPKPfEEvbT0_T2_lS5_lPT1_: ; @_ZN9rocsolver6v33100L18potf2_kernel_smallIfllPKPfEEvbT0_T2_lS5_lPT1_
; %bb.0:
	s_add_u32 s6, s6, s10
	s_mov_b32 s32, 0
	s_addc_u32 s7, s7, 0
	s_setreg_b32 hwreg(HW_REG_FLAT_SCR_LO), s6
	s_setreg_b32 hwreg(HW_REG_FLAT_SCR_HI), s7
	s_load_dwordx2 s[46:47], s[4:5], 0x44
	s_add_u32 s0, s0, s10
	v_mov_b32_e32 v45, v2
	v_mov_b32_e32 v41, v1
	;; [unrolled: 1-line block ×3, first 2 shown]
	s_addc_u32 s1, s1, 0
	s_mov_b64 s[26:27], s[4:5]
	s_mov_b32 s44, s9
	s_waitcnt lgkmcnt(0)
	s_and_b32 s4, s47, 0xffff
	s_cmp_eq_u32 s4, 1
	s_cbranch_scc1 .LBB5_2
; %bb.1:
	s_add_u32 s8, s26, 56
	s_addc_u32 s9, s27, 0
	s_getpc_b64 s[4:5]
	s_add_u32 s4, s4, .str@rel32@lo+4
	s_addc_u32 s5, s5, .str@rel32@hi+12
	s_getpc_b64 s[6:7]
	s_add_u32 s6, s6, __PRETTY_FUNCTION__._ZN9rocsolver6v33100L18potf2_kernel_smallIfllPKPfEEvbT0_T2_lS5_lPT1_@rel32@lo+4
	s_addc_u32 s7, s7, __PRETTY_FUNCTION__._ZN9rocsolver6v33100L18potf2_kernel_smallIfllPKPfEEvbT0_T2_lS5_lPT1_@rel32@hi+12
	v_mov_b32_e32 v0, s4
	v_mov_b32_e32 v1, s5
	;; [unrolled: 1-line block ×5, first 2 shown]
	s_getpc_b64 s[10:11]
	s_add_u32 s10, s10, __assert_fail@rel32@lo+4
	s_addc_u32 s11, s11, __assert_fail@rel32@hi+12
	s_swappc_b64 s[30:31], s[10:11]
	s_mov_b32 s47, -1
	s_cbranch_execz .LBB5_3
	s_branch .LBB5_93
.LBB5_2:
	s_mov_b32 s47, 0
.LBB5_3:
	s_load_dwordx8 s[36:43], s[26:27], 0x8
	s_waitcnt lgkmcnt(0)
	s_cmp_lg_u64 s[38:39], 0
	s_cbranch_scc0 .LBB5_9
; %bb.4:
	s_load_dwordx2 s[28:29], s[26:27], 0x30
	s_waitcnt lgkmcnt(0)
	s_cmp_lg_u64 s[28:29], 0
	s_cbranch_scc0 .LBB5_10
; %bb.5:
	s_mov_b32 s45, 0
	v_mov_b32_e32 v42, 0
	s_lshl_b64 s[34:35], s[44:45], 3
	s_add_u32 s4, s38, s34
	s_addc_u32 s5, s39, s35
	global_load_dwordx2 v[46:47], v42, s[4:5]
	s_waitcnt vmcnt(0)
	v_cmp_ne_u64_e32 vcc_lo, 0, v[46:47]
	s_cbranch_vccz .LBB5_11
; %bb.6:
	s_load_dword s5, s[26:27], 0x0
	v_cmp_gt_i64_e64 s25, s[36:37], v[41:42]
	s_mov_b32 s4, -1
	s_waitcnt lgkmcnt(0)
	s_waitcnt_vscnt null, 0x0
	s_barrier
	buffer_gl0_inv
	s_bitcmp1_b32 s5, 0
	s_cselect_b32 s5, -1, 0
	s_lshr_b32 s38, s46, 16
	s_xor_b32 s44, s5, -1
	s_and_b32 s39, s46, 0xffff
	s_and_b32 vcc_lo, exec_lo, s44
	s_cbranch_vccnz .LBB5_12
; %bb.7:
	s_and_b32 vcc_lo, exec_lo, s4
	s_cbranch_vccnz .LBB5_27
.LBB5_8:
	s_and_saveexec_b32 s46, s45
	s_cbranch_execnz .LBB5_34
	s_branch .LBB5_87
.LBB5_9:
	s_cbranch_execnz .LBB5_92
	s_branch .LBB5_93
.LBB5_10:
	s_cbranch_execnz .LBB5_90
	s_branch .LBB5_91
.LBB5_11:
	s_cbranch_execnz .LBB5_88
	s_branch .LBB5_89
.LBB5_12:
	s_mov_b32 s45, -1
	s_and_saveexec_b32 s46, s25
	s_cbranch_execz .LBB5_26
; %bb.13:
	v_mad_u64_u32 v[2:3], null, s42, v41, 0
	s_lshl_b64 s[4:5], s[40:41], 2
	v_add_lshl_u32 v4, v41, v43, 2
	s_lshl_b64 s[6:7], s[36:37], 1
	s_lshl_b64 s[10:11], s[42:43], 2
	s_or_b32 s6, s6, 1
	s_add_u32 s9, s10, 4
	v_mov_b32_e32 v0, v3
	s_addc_u32 s10, s11, 0
	s_mov_b32 s8, 0
	s_mul_i32 s10, s10, s38
	s_mul_i32 s11, s9, s38
	v_mad_u64_u32 v[0:1], null, s43, v41, v[0:1]
	v_mov_b32_e32 v1, 0
	s_lshl_b32 s12, s39, 2
                                        ; implicit-def: $sgpr13
	v_mov_b32_e32 v3, v0
	v_add_nc_u32_e32 v0, v41, v43
	v_lshlrev_b64 v[2:3], 2, v[2:3]
	v_add_co_u32 v2, vcc_lo, v2, s4
	v_add_co_ci_u32_e64 v3, null, s5, v3, vcc_lo
	s_mul_hi_u32 s4, s9, s38
	v_add_co_u32 v2, vcc_lo, v2, v4
	v_add_co_ci_u32_e64 v3, null, 0, v3, vcc_lo
	v_mov_b32_e32 v4, v41
	v_add_co_u32 v2, vcc_lo, v46, v2
	v_add_co_ci_u32_e64 v3, null, v47, v3, vcc_lo
	v_mov_b32_e32 v5, v42
	s_add_i32 s10, s4, s10
                                        ; implicit-def: $sgpr9
	s_branch .LBB5_15
.LBB5_14:                               ;   in Loop: Header=BB5_15 Depth=1
	s_or_b32 exec_lo, exec_lo, s5
	s_and_b32 s4, exec_lo, s4
	s_or_b32 s8, s4, s8
	s_andn2_b32 s4, s9, exec_lo
	s_and_b32 s5, s13, exec_lo
	s_or_b32 s9, s4, s5
	s_andn2_b32 exec_lo, exec_lo, s8
	s_cbranch_execz .LBB5_23
.LBB5_15:                               ; =>This Loop Header: Depth=1
                                        ;     Child Loop BB5_18 Depth 2
	v_add_co_u32 v6, vcc_lo, v4, v43
	v_add_co_ci_u32_e64 v7, null, 0, v5, vcc_lo
	s_mov_b32 s15, -1
	s_mov_b32 s14, exec_lo
	v_cmpx_gt_i64_e64 s[36:37], v[6:7]
	s_cbranch_execz .LBB5_21
; %bb.16:                               ;   in Loop: Header=BB5_15 Depth=1
	v_sub_co_u32 v8, vcc_lo, s6, v4
	v_sub_co_ci_u32_e64 v9, null, s7, v5, vcc_lo
	s_mov_b32 s15, 0
	v_mul_lo_u32 v11, v8, v5
	v_cmp_ge_u64_e32 vcc_lo, v[0:1], v[4:5]
	v_mul_lo_u32 v10, v9, v4
	v_mad_u64_u32 v[8:9], null, v8, v4, 0
                                        ; implicit-def: $sgpr16
                                        ; implicit-def: $sgpr18
                                        ; implicit-def: $sgpr17
	v_add3_u32 v9, v9, v11, v10
	v_lshrrev_b32_e32 v9, 31, v9
	v_add_nc_u32_e32 v8, v8, v9
	v_lshrrev_b32_e32 v8, 1, v8
	v_add_nc_u32_e32 v8, v43, v8
	v_lshl_add_u32 v10, v8, 2, 0
	v_mov_b32_e32 v9, v3
	v_mov_b32_e32 v8, v2
	s_inst_prefetch 0x1
	s_branch .LBB5_18
	.p2align	6
.LBB5_17:                               ;   in Loop: Header=BB5_18 Depth=2
	s_or_b32 exec_lo, exec_lo, s19
	s_xor_b32 s4, s17, -1
	s_and_b32 s5, exec_lo, s18
	s_or_b32 s15, s5, s15
	s_andn2_b32 s5, s16, exec_lo
	s_and_b32 s4, s4, exec_lo
	s_or_b32 s16, s5, s4
	s_andn2_b32 exec_lo, exec_lo, s15
	s_cbranch_execz .LBB5_20
.LBB5_18:                               ;   Parent Loop BB5_15 Depth=1
                                        ; =>  This Inner Loop Header: Depth=2
	s_or_b32 s17, s17, exec_lo
	s_or_b32 s18, s18, exec_lo
	s_and_saveexec_b32 s19, vcc_lo
	s_cbranch_execz .LBB5_17
; %bb.19:                               ;   in Loop: Header=BB5_18 Depth=2
	flat_load_dword v11, v[8:9]
	v_add_co_u32 v6, s4, v6, s39
	v_add_co_ci_u32_e64 v7, null, 0, v7, s4
	v_add_co_u32 v8, s5, v8, s12
	v_add_co_ci_u32_e64 v9, null, 0, v9, s5
	v_cmp_le_i64_e64 s4, s[36:37], v[6:7]
	s_andn2_b32 s5, s18, exec_lo
	s_andn2_b32 s17, s17, exec_lo
	s_and_b32 s4, s4, exec_lo
	s_or_b32 s18, s5, s4
	s_waitcnt vmcnt(0) lgkmcnt(0)
	ds_write_b32 v10, v11
	v_add_nc_u32_e32 v10, s12, v10
	s_branch .LBB5_17
.LBB5_20:                               ;   in Loop: Header=BB5_15 Depth=1
	s_inst_prefetch 0x2
	s_or_b32 exec_lo, exec_lo, s15
	s_orn2_b32 s15, s16, exec_lo
.LBB5_21:                               ;   in Loop: Header=BB5_15 Depth=1
	s_or_b32 exec_lo, exec_lo, s14
	s_mov_b32 s4, -1
	s_or_b32 s13, s13, exec_lo
	s_and_saveexec_b32 s5, s15
	s_cbranch_execz .LBB5_14
; %bb.22:                               ;   in Loop: Header=BB5_15 Depth=1
	v_add_co_u32 v4, vcc_lo, v4, s38
	v_add_co_ci_u32_e64 v5, null, 0, v5, vcc_lo
	v_add_co_u32 v0, vcc_lo, v0, s38
	v_add_co_ci_u32_e64 v1, null, 0, v1, vcc_lo
	v_cmp_le_i64_e32 vcc_lo, s[36:37], v[4:5]
	v_add_co_u32 v2, s4, v2, s11
	v_add_co_ci_u32_e64 v3, null, s10, v3, s4
	s_andn2_b32 s13, s13, exec_lo
	s_orn2_b32 s4, vcc_lo, exec_lo
	s_branch .LBB5_14
.LBB5_23:
	s_or_b32 exec_lo, exec_lo, s8
	s_mov_b32 s4, -1
	s_mov_b32 s5, s47
	s_and_saveexec_b32 s6, s9
	s_xor_b32 s45, exec_lo, s6
	s_cbranch_execz .LBB5_25
; %bb.24:
	s_add_u32 s8, s26, 56
	s_addc_u32 s9, s27, 0
	s_getpc_b64 s[4:5]
	s_add_u32 s4, s4, .str.10@rel32@lo+4
	s_addc_u32 s5, s5, .str.10@rel32@hi+12
	s_getpc_b64 s[6:7]
	s_add_u32 s6, s6, __PRETTY_FUNCTION__._ZN9rocsolver6v33100L9idx_lowerIlEET_S2_S2_S2_@rel32@lo+4
	s_addc_u32 s7, s7, __PRETTY_FUNCTION__._ZN9rocsolver6v33100L9idx_lowerIlEET_S2_S2_S2_@rel32@hi+12
	v_mov_b32_e32 v0, s4
	v_mov_b32_e32 v1, s5
	;; [unrolled: 1-line block ×5, first 2 shown]
	s_getpc_b64 s[10:11]
	s_add_u32 s10, s10, __assert_fail@rel32@lo+4
	s_addc_u32 s11, s11, __assert_fail@rel32@hi+12
	s_swappc_b64 s[30:31], s[10:11]
	s_or_b32 s5, s47, exec_lo
	s_xor_b32 s4, exec_lo, -1
.LBB5_25:
	s_or_b32 exec_lo, exec_lo, s45
	s_andn2_b32 s6, s47, exec_lo
	s_and_b32 s5, s5, exec_lo
	s_orn2_b32 s45, s4, exec_lo
	s_or_b32 s47, s6, s5
.LBB5_26:
	s_or_b32 exec_lo, exec_lo, s46
	s_branch .LBB5_8
.LBB5_27:
	s_and_saveexec_b32 s5, s25
	s_cbranch_execz .LBB5_33
; %bb.28:
	v_mad_u64_u32 v[0:1], null, s42, v41, 0
	s_lshl_b64 s[8:9], s[40:41], 2
	s_lshl_b64 s[6:7], s[36:37], 1
	s_mul_i32 s4, s43, s38
	v_sub_co_u32 v3, s6, s6, v43
	v_sub_co_ci_u32_e64 v4, null, s7, 0, s6
	v_mad_u64_u32 v[1:2], null, s43, v41, v[1:2]
	v_lshlrev_b32_e32 v2, 2, v43
	s_mul_hi_u32 s11, s42, s38
	v_mov_b32_e32 v44, 0
	v_sub_nc_u32_e32 v12, v41, v43
	s_mul_i32 s10, s42, s38
	s_add_i32 s11, s11, s4
	v_lshlrev_b64 v[0:1], 2, v[0:1]
	s_lshl_b64 s[6:7], s[10:11], 2
	v_add_co_u32 v0, vcc_lo, v0, s8
	v_add_co_ci_u32_e64 v1, null, s9, v1, vcc_lo
	s_mov_b32 s8, 0
	v_add_co_u32 v2, vcc_lo, v0, v2
	v_add_co_ci_u32_e64 v5, null, 0, v1, vcc_lo
	v_add_co_u32 v0, vcc_lo, v3, 1
	v_add_co_ci_u32_e64 v1, null, 0, v4, vcc_lo
	;; [unrolled: 2-line block ×3, first 2 shown]
	v_mov_b32_e32 v4, v41
	v_mov_b32_e32 v5, v42
	s_lshl_b32 s9, s39, 2
	s_branch .LBB5_30
.LBB5_29:                               ;   in Loop: Header=BB5_30 Depth=1
	s_inst_prefetch 0x2
	s_or_b32 exec_lo, exec_lo, s10
	v_add_co_u32 v4, vcc_lo, v4, s38
	v_add_co_ci_u32_e64 v5, null, 0, v5, vcc_lo
	v_add_co_u32 v2, s4, v2, s6
	v_add_nc_u32_e32 v12, s38, v12
	v_cmp_le_i64_e32 vcc_lo, s[36:37], v[4:5]
	v_add_co_ci_u32_e64 v3, null, s7, v3, s4
	s_or_b32 s8, vcc_lo, s8
	s_andn2_b32 exec_lo, exec_lo, s8
	s_cbranch_execz .LBB5_33
.LBB5_30:                               ; =>This Loop Header: Depth=1
                                        ;     Child Loop BB5_32 Depth 2
	s_mov_b32 s10, exec_lo
	v_cmpx_ge_u64_e64 v[4:5], v[43:44]
	s_cbranch_execz .LBB5_29
; %bb.31:                               ;   in Loop: Header=BB5_30 Depth=1
	v_mov_b32_e32 v7, v3
	v_mov_b32_e32 v9, v1
	;; [unrolled: 1-line block ×7, first 2 shown]
	s_mov_b32 s11, 0
	s_inst_prefetch 0x1
	.p2align	6
.LBB5_32:                               ;   Parent Loop BB5_30 Depth=1
                                        ; =>  This Inner Loop Header: Depth=2
	flat_load_dword v16, v[6:7]
	v_mul_lo_u32 v17, v9, v10
	v_mul_lo_u32 v18, v8, v11
	v_mad_u64_u32 v[14:15], null, v8, v10, 0
	v_add_co_u32 v10, vcc_lo, v10, s39
	v_add_co_ci_u32_e64 v11, null, 0, v11, vcc_lo
	v_sub_co_u32 v8, vcc_lo, v8, s39
	v_add3_u32 v15, v15, v18, v17
	v_cmp_gt_u64_e64 s4, v[10:11], v[4:5]
	v_subrev_co_ci_u32_e64 v9, null, 0, v9, vcc_lo
	v_add_co_u32 v6, vcc_lo, v6, s9
	v_lshrrev_b32_e32 v15, 31, v15
	v_add_co_ci_u32_e64 v7, null, 0, v7, vcc_lo
	s_or_b32 s11, s4, s11
	v_add_nc_u32_e32 v14, v14, v15
	v_lshrrev_b32_e32 v14, 1, v14
	v_add_nc_u32_e32 v14, v13, v14
	v_subrev_nc_u32_e32 v13, s39, v13
	v_lshl_add_u32 v14, v14, 2, 0
	s_waitcnt vmcnt(0) lgkmcnt(0)
	ds_write_b32 v14, v16
	s_andn2_b32 exec_lo, exec_lo, s11
	s_cbranch_execnz .LBB5_32
	s_branch .LBB5_29
.LBB5_33:
	s_or_b32 exec_lo, exec_lo, s5
	s_mov_b32 s45, -1
	s_and_saveexec_b32 s46, s45
	s_cbranch_execz .LBB5_87
.LBB5_34:
	v_cmp_lt_i64_e64 s4, s[36:37], 1
	s_waitcnt lgkmcnt(0)
	s_waitcnt_vscnt null, 0x0
	s_barrier
	buffer_gl0_inv
	s_and_b32 vcc_lo, exec_lo, s4
	s_cbranch_vccnz .LBB5_59
; %bb.35:
	s_mul_i32 s16, s38, s39
	v_mul_u32_u24_e32 v1, s39, v41
	v_mul_lo_u32 v0, s16, v45
	s_add_u32 s6, s28, s34
	v_mov_b32_e32 v6, 0
	v_sub_nc_u32_e32 v8, v43, v41
	s_addc_u32 s7, s29, s35
	s_lshl_b64 s[8:9], s[36:37], 1
	s_lshl_b32 s17, s16, 2
	s_or_b32 s8, s8, 1
	v_add3_u32 v7, v1, v43, v0
	s_lshl_b32 s18, s39, 2
	s_mov_b64 s[12:13], 0
	s_mov_b64 s[10:11], 0
	v_cmp_eq_u32_e64 s4, 0, v7
	s_branch .LBB5_37
.LBB5_36:                               ;   in Loop: Header=BB5_37 Depth=1
	s_andn2_b32 vcc_lo, exec_lo, s5
	s_cbranch_vccz .LBB5_59
.LBB5_37:                               ; =>This Loop Header: Depth=1
                                        ;     Child Loop BB5_48 Depth 2
                                        ;     Child Loop BB5_52 Depth 2
                                        ;       Child Loop BB5_55 Depth 3
	s_add_u32 s5, s12, s8
	s_addc_u32 s13, s13, s9
	s_mul_i32 s14, s5, s11
	s_mul_hi_u32 s15, s5, s10
	s_mul_i32 s13, s13, s10
	s_add_i32 s14, s15, s14
	s_mul_i32 s5, s5, s10
	s_add_i32 s13, s14, s13
	s_lshr_b32 s14, s13, 31
	s_add_u32 s14, s5, s14
	s_addc_u32 s15, s13, 0
	s_ashr_i64 s[14:15], s[14:15], 1
	s_lshl_b32 s5, s14, 2
	s_add_i32 s15, s5, 0
	s_mov_b32 s5, -1
	v_mov_b32_e32 v0, s15
	ds_read_b32 v0, v0
	s_waitcnt lgkmcnt(0)
	v_cmp_class_f32_e64 s13, v0, 0x180
	s_and_b32 vcc_lo, exec_lo, s13
	s_cbranch_vccz .LBB5_40
; %bb.38:                               ;   in Loop: Header=BB5_37 Depth=1
	s_andn2_b32 vcc_lo, exec_lo, s5
	s_cbranch_vccz .LBB5_44
.LBB5_39:                               ;   in Loop: Header=BB5_37 Depth=1
	s_and_b32 vcc_lo, exec_lo, s13
	s_mov_b32 s5, -1
                                        ; implicit-def: $sgpr12_sgpr13
	s_cbranch_vccz .LBB5_36
	s_branch .LBB5_58
.LBB5_40:                               ;   in Loop: Header=BB5_37 Depth=1
	s_and_saveexec_b32 s5, s4
	s_cbranch_execz .LBB5_43
; %bb.41:                               ;   in Loop: Header=BB5_37 Depth=1
	global_load_dwordx2 v[1:2], v6, s[6:7]
	s_waitcnt vmcnt(0)
	v_cmp_ne_u64_e32 vcc_lo, 0, v[1:2]
	s_cbranch_vccnz .LBB5_43
; %bb.42:                               ;   in Loop: Header=BB5_37 Depth=1
	s_add_u32 s20, s10, 1
	s_addc_u32 s21, s11, 0
	v_mov_b32_e32 v1, s20
	v_mov_b32_e32 v2, s21
	global_store_dwordx2 v6, v[1:2], s[6:7]
.LBB5_43:                               ;   in Loop: Header=BB5_37 Depth=1
	s_or_b32 exec_lo, exec_lo, s5
	s_cbranch_execnz .LBB5_39
.LBB5_44:                               ;   in Loop: Header=BB5_37 Depth=1
	v_mul_f32_e32 v1, 0x4f800000, v0
	v_cmp_gt_f32_e32 vcc_lo, 0xf800000, v0
	v_cndmask_b32_e32 v0, v0, v1, vcc_lo
	v_sqrt_f32_e32 v1, v0
	v_add_nc_u32_e32 v2, -1, v1
	v_add_nc_u32_e32 v3, 1, v1
	v_fma_f32 v4, -v2, v1, v0
	v_fma_f32 v5, -v3, v1, v0
	v_cmp_ge_f32_e64 s5, 0, v4
	v_cndmask_b32_e64 v1, v1, v2, s5
	v_cmp_lt_f32_e64 s5, 0, v5
	v_cndmask_b32_e64 v1, v1, v3, s5
	v_mul_f32_e32 v2, 0x37800000, v1
	v_cndmask_b32_e32 v1, v1, v2, vcc_lo
	v_cmp_class_f32_e64 vcc_lo, v0, 0x260
	v_cndmask_b32_e32 v2, v1, v0, vcc_lo
	s_and_saveexec_b32 s5, s4
; %bb.45:                               ;   in Loop: Header=BB5_37 Depth=1
	v_mov_b32_e32 v0, s15
	ds_write_b32 v0, v2
; %bb.46:                               ;   in Loop: Header=BB5_37 Depth=1
	s_or_b32 exec_lo, exec_lo, s5
	s_add_u32 s5, s10, 1
	s_addc_u32 s19, s11, 0
	v_add_co_u32 v0, s15, s5, v7
	v_add_co_ci_u32_e64 v1, null, s19, 0, s15
	s_mov_b32 s15, exec_lo
	s_waitcnt lgkmcnt(0)
	s_waitcnt_vscnt null, 0x0
	s_barrier
	buffer_gl0_inv
	v_cmpx_gt_i64_e64 s[36:37], v[0:1]
	s_cbranch_execz .LBB5_49
; %bb.47:                               ;   in Loop: Header=BB5_37 Depth=1
	v_add_lshl_u32 v3, v7, s14, 2
	s_mov_b32 s20, 0
	v_add3_u32 v3, 0, 4, v3
	.p2align	6
.LBB5_48:                               ;   Parent Loop BB5_37 Depth=1
                                        ; =>  This Inner Loop Header: Depth=2
	ds_read_b32 v4, v3
	s_waitcnt lgkmcnt(0)
	v_div_scale_f32 v5, null, v2, v2, v4
	v_div_scale_f32 v11, vcc_lo, v4, v2, v4
	v_rcp_f32_e32 v9, v5
	v_fma_f32 v10, -v5, v9, 1.0
	v_fmac_f32_e32 v9, v10, v9
	v_mul_f32_e32 v10, v11, v9
	v_fma_f32 v12, -v5, v10, v11
	v_fmac_f32_e32 v10, v12, v9
	v_fma_f32 v5, -v5, v10, v11
	v_div_fmas_f32 v5, v5, v9, v10
	v_add_co_u32 v0, vcc_lo, v0, s16
	v_add_co_ci_u32_e64 v1, null, 0, v1, vcc_lo
	v_div_fixup_f32 v4, v5, v2, v4
	v_cmp_le_i64_e32 vcc_lo, s[36:37], v[0:1]
	ds_write_b32 v3, v4
	v_add_nc_u32_e32 v3, s17, v3
	s_or_b32 s20, vcc_lo, s20
	s_andn2_b32 exec_lo, exec_lo, s20
	s_cbranch_execnz .LBB5_48
.LBB5_49:                               ;   in Loop: Header=BB5_37 Depth=1
	s_or_b32 exec_lo, exec_lo, s15
	v_add_co_u32 v0, s15, s5, v41
	v_add_co_ci_u32_e64 v1, null, s19, 0, s15
	s_mov_b32 s15, exec_lo
	s_waitcnt lgkmcnt(0)
	s_barrier
	buffer_gl0_inv
	v_cmpx_gt_i64_e64 s[36:37], v[0:1]
	s_cbranch_execz .LBB5_57
; %bb.50:                               ;   in Loop: Header=BB5_37 Depth=1
	v_add_co_u32 v2, s5, s5, v43
	v_add_co_ci_u32_e64 v3, null, s19, 0, s5
	v_add_lshl_u32 v9, v43, s14, 2
	v_mov_b32_e32 v10, v8
	s_add_u32 s12, s14, s12
	s_mov_b32 s14, 0
	v_cmp_gt_i64_e32 vcc_lo, s[36:37], v[2:3]
	s_branch .LBB5_52
.LBB5_51:                               ;   in Loop: Header=BB5_52 Depth=2
	s_inst_prefetch 0x2
	s_or_b32 exec_lo, exec_lo, s19
	v_add_co_u32 v0, s5, v0, s38
	v_add_co_ci_u32_e64 v1, null, 0, v1, s5
	v_subrev_nc_u32_e32 v10, s38, v10
	v_cmp_le_i64_e64 s5, s[36:37], v[0:1]
	s_or_b32 s14, s5, s14
	s_andn2_b32 exec_lo, exec_lo, s14
	s_cbranch_execz .LBB5_57
.LBB5_52:                               ;   Parent Loop BB5_37 Depth=1
                                        ; =>  This Loop Header: Depth=2
                                        ;       Child Loop BB5_55 Depth 3
	s_and_saveexec_b32 s19, vcc_lo
	s_cbranch_execz .LBB5_51
; %bb.53:                               ;   in Loop: Header=BB5_52 Depth=2
	v_sub_co_u32 v4, s5, s8, v0
	v_sub_co_ci_u32_e64 v5, null, s9, v1, s5
	v_add_nc_u32_e32 v13, s12, v0
	v_mul_lo_u32 v12, v4, v1
	s_mov_b32 s20, 0
	s_waitcnt lgkmcnt(0)
	v_mul_lo_u32 v11, v5, v0
	v_mad_u64_u32 v[4:5], null, v4, v0, 0
	s_mov_b32 s21, 0
	v_add3_u32 v5, v5, v12, v11
	v_lshl_add_u32 v11, v13, 2, 0
	v_lshrrev_b32_e32 v5, 31, v5
	ds_read_b32 v11, v11
	v_add_nc_u32_e32 v4, v4, v5
	v_lshrrev_b32_e32 v4, 1, v4
	v_add_lshl_u32 v12, v10, v4, 2
	v_mov_b32_e32 v5, v3
	v_mov_b32_e32 v4, v2
	s_inst_prefetch 0x1
	s_branch .LBB5_55
	.p2align	6
.LBB5_54:                               ;   in Loop: Header=BB5_55 Depth=3
	s_or_b32 exec_lo, exec_lo, s22
	v_add_co_u32 v4, s5, v4, s39
	v_add_co_ci_u32_e64 v5, null, 0, v5, s5
	s_add_i32 s21, s21, s18
	v_cmp_le_i64_e64 s5, s[36:37], v[4:5]
	s_or_b32 s20, s5, s20
	s_andn2_b32 exec_lo, exec_lo, s20
	s_cbranch_execz .LBB5_51
.LBB5_55:                               ;   Parent Loop BB5_37 Depth=1
                                        ;     Parent Loop BB5_52 Depth=2
                                        ; =>    This Inner Loop Header: Depth=3
	s_mov_b32 s22, exec_lo
	v_cmpx_ge_u64_e64 v[4:5], v[0:1]
	s_cbranch_execz .LBB5_54
; %bb.56:                               ;   in Loop: Header=BB5_55 Depth=3
	v_add_nc_u32_e32 v13, s21, v9
	v_add_nc_u32_e32 v14, s21, v12
	ds_read_b32 v13, v13 offset:4
	ds_read_b32 v15, v14
	s_waitcnt lgkmcnt(0)
	v_fma_f32 v13, -v11, v13, v15
	ds_write_b32 v14, v13
	s_branch .LBB5_54
.LBB5_57:                               ;   in Loop: Header=BB5_37 Depth=1
	s_or_b32 exec_lo, exec_lo, s15
	s_waitcnt lgkmcnt(0)
	s_barrier
	buffer_gl0_inv
	s_and_b32 vcc_lo, exec_lo, s13
	s_mov_b32 s5, -1
                                        ; implicit-def: $sgpr12_sgpr13
	s_cbranch_vccz .LBB5_36
.LBB5_58:                               ;   in Loop: Header=BB5_37 Depth=1
	s_add_u32 s14, s10, 1
	s_addc_u32 s15, s11, 0
	s_not_b64 s[12:13], s[10:11]
	s_cmp_eq_u64 s[14:15], s[36:37]
	s_mov_b64 s[10:11], s[14:15]
	s_cselect_b32 s5, -1, 0
	s_branch .LBB5_36
.LBB5_59:
	s_andn2_b32 vcc_lo, exec_lo, s44
	s_waitcnt_vscnt null, 0x0
	s_barrier
	buffer_gl0_inv
	s_cbranch_vccnz .LBB5_71
; %bb.60:
	s_mov_b32 s4, -1
	s_mov_b32 s5, s47
	s_and_saveexec_b32 s28, s25
	s_cbranch_execz .LBB5_75
; %bb.61:
	v_mad_u64_u32 v[2:3], null, s42, v41, 0
	s_lshl_b64 s[4:5], s[40:41], 2
	v_add_lshl_u32 v4, v41, v43, 2
	s_lshl_b64 s[6:7], s[36:37], 1
	s_lshl_b64 s[10:11], s[42:43], 2
	s_or_b32 s6, s6, 1
	s_add_u32 s9, s10, 4
	v_mov_b32_e32 v0, v3
	s_addc_u32 s10, s11, 0
	s_mov_b32 s8, 0
	s_mul_i32 s10, s10, s38
	s_mul_i32 s11, s9, s38
	v_mad_u64_u32 v[0:1], null, s43, v41, v[0:1]
	v_mov_b32_e32 v1, 0
	s_lshl_b32 s12, s39, 2
                                        ; implicit-def: $sgpr13
	v_mov_b32_e32 v3, v0
	v_add_nc_u32_e32 v0, v41, v43
	v_lshlrev_b64 v[2:3], 2, v[2:3]
	v_add_co_u32 v2, vcc_lo, v2, s4
	v_add_co_ci_u32_e64 v3, null, s5, v3, vcc_lo
	s_mul_hi_u32 s4, s9, s38
	v_add_co_u32 v2, vcc_lo, v2, v4
	v_add_co_ci_u32_e64 v3, null, 0, v3, vcc_lo
	v_mov_b32_e32 v4, v41
	v_add_co_u32 v2, vcc_lo, v46, v2
	v_add_co_ci_u32_e64 v3, null, v47, v3, vcc_lo
	v_mov_b32_e32 v5, v42
	s_add_i32 s10, s4, s10
                                        ; implicit-def: $sgpr9
	s_branch .LBB5_63
.LBB5_62:                               ;   in Loop: Header=BB5_63 Depth=1
	s_or_b32 exec_lo, exec_lo, s5
	s_and_b32 s4, exec_lo, s4
	s_or_b32 s8, s4, s8
	s_andn2_b32 s4, s9, exec_lo
	s_and_b32 s5, s13, exec_lo
	s_or_b32 s9, s4, s5
	s_andn2_b32 exec_lo, exec_lo, s8
	s_cbranch_execz .LBB5_72
.LBB5_63:                               ; =>This Loop Header: Depth=1
                                        ;     Child Loop BB5_66 Depth 2
	v_add_co_u32 v6, vcc_lo, v4, v43
	v_add_co_ci_u32_e64 v7, null, 0, v5, vcc_lo
	s_mov_b32 s15, -1
	s_mov_b32 s14, exec_lo
	v_cmpx_gt_i64_e64 s[36:37], v[6:7]
	s_cbranch_execz .LBB5_69
; %bb.64:                               ;   in Loop: Header=BB5_63 Depth=1
	v_sub_co_u32 v8, vcc_lo, s6, v4
	v_sub_co_ci_u32_e64 v9, null, s7, v5, vcc_lo
	s_mov_b32 s15, 0
	v_mul_lo_u32 v11, v8, v5
	v_cmp_ge_u64_e32 vcc_lo, v[0:1], v[4:5]
	v_mul_lo_u32 v10, v9, v4
	v_mad_u64_u32 v[8:9], null, v8, v4, 0
                                        ; implicit-def: $sgpr16
                                        ; implicit-def: $sgpr18
                                        ; implicit-def: $sgpr17
	v_add3_u32 v9, v9, v11, v10
	v_lshrrev_b32_e32 v9, 31, v9
	v_add_nc_u32_e32 v8, v8, v9
	v_lshrrev_b32_e32 v8, 1, v8
	v_add_nc_u32_e32 v8, v43, v8
	v_lshl_add_u32 v10, v8, 2, 0
	v_mov_b32_e32 v9, v3
	v_mov_b32_e32 v8, v2
	s_inst_prefetch 0x1
	s_branch .LBB5_66
	.p2align	6
.LBB5_65:                               ;   in Loop: Header=BB5_66 Depth=2
	s_or_b32 exec_lo, exec_lo, s19
	s_xor_b32 s4, s17, -1
	s_and_b32 s5, exec_lo, s18
	s_or_b32 s15, s5, s15
	s_andn2_b32 s5, s16, exec_lo
	s_and_b32 s4, s4, exec_lo
	s_or_b32 s16, s5, s4
	s_andn2_b32 exec_lo, exec_lo, s15
	s_cbranch_execz .LBB5_68
.LBB5_66:                               ;   Parent Loop BB5_63 Depth=1
                                        ; =>  This Inner Loop Header: Depth=2
	s_or_b32 s17, s17, exec_lo
	s_or_b32 s18, s18, exec_lo
	s_and_saveexec_b32 s19, vcc_lo
	s_cbranch_execz .LBB5_65
; %bb.67:                               ;   in Loop: Header=BB5_66 Depth=2
	ds_read_b32 v11, v10
	v_add_co_u32 v6, s4, v6, s39
	v_add_co_ci_u32_e64 v7, null, 0, v7, s4
	v_add_nc_u32_e32 v10, s12, v10
	s_andn2_b32 s17, s17, exec_lo
	v_cmp_le_i64_e64 s4, s[36:37], v[6:7]
	s_and_b32 s4, s4, exec_lo
	s_waitcnt lgkmcnt(0)
	flat_store_dword v[8:9], v11
	v_add_co_u32 v8, s5, v8, s12
	v_add_co_ci_u32_e64 v9, null, 0, v9, s5
	s_andn2_b32 s5, s18, exec_lo
	s_or_b32 s18, s5, s4
	s_branch .LBB5_65
.LBB5_68:                               ;   in Loop: Header=BB5_63 Depth=1
	s_inst_prefetch 0x2
	s_or_b32 exec_lo, exec_lo, s15
	s_orn2_b32 s15, s16, exec_lo
.LBB5_69:                               ;   in Loop: Header=BB5_63 Depth=1
	s_or_b32 exec_lo, exec_lo, s14
	s_mov_b32 s4, -1
	s_or_b32 s13, s13, exec_lo
	s_and_saveexec_b32 s5, s15
	s_cbranch_execz .LBB5_62
; %bb.70:                               ;   in Loop: Header=BB5_63 Depth=1
	v_add_co_u32 v4, vcc_lo, v4, s38
	v_add_co_ci_u32_e64 v5, null, 0, v5, vcc_lo
	v_add_co_u32 v0, vcc_lo, v0, s38
	v_add_co_ci_u32_e64 v1, null, 0, v1, vcc_lo
	v_cmp_le_i64_e32 vcc_lo, s[36:37], v[4:5]
	v_add_co_u32 v2, s4, v2, s11
	v_add_co_ci_u32_e64 v3, null, s10, v3, s4
	s_andn2_b32 s13, s13, exec_lo
	s_orn2_b32 s4, vcc_lo, exec_lo
	s_branch .LBB5_62
.LBB5_71:
	s_mov_b32 s6, -1
	s_mov_b32 s4, 0
	s_mov_b32 s5, s47
	s_branch .LBB5_76
.LBB5_72:
	s_or_b32 exec_lo, exec_lo, s8
	s_mov_b32 s4, -1
	s_mov_b32 s5, s47
	s_and_saveexec_b32 s6, s9
	s_xor_b32 s29, exec_lo, s6
	s_cbranch_execz .LBB5_74
; %bb.73:
	s_add_u32 s8, s26, 56
	s_addc_u32 s9, s27, 0
	s_getpc_b64 s[4:5]
	s_add_u32 s4, s4, .str.10@rel32@lo+4
	s_addc_u32 s5, s5, .str.10@rel32@hi+12
	s_getpc_b64 s[6:7]
	s_add_u32 s6, s6, __PRETTY_FUNCTION__._ZN9rocsolver6v33100L9idx_lowerIlEET_S2_S2_S2_@rel32@lo+4
	s_addc_u32 s7, s7, __PRETTY_FUNCTION__._ZN9rocsolver6v33100L9idx_lowerIlEET_S2_S2_S2_@rel32@hi+12
	v_mov_b32_e32 v0, s4
	v_mov_b32_e32 v1, s5
	;; [unrolled: 1-line block ×5, first 2 shown]
	s_getpc_b64 s[10:11]
	s_add_u32 s10, s10, __assert_fail@rel32@lo+4
	s_addc_u32 s11, s11, __assert_fail@rel32@hi+12
	s_swappc_b64 s[30:31], s[10:11]
	s_or_b32 s5, s47, exec_lo
	s_xor_b32 s4, exec_lo, -1
.LBB5_74:
	s_or_b32 exec_lo, exec_lo, s29
	s_andn2_b32 s6, s47, exec_lo
	s_and_b32 s5, s5, exec_lo
	s_orn2_b32 s4, s4, exec_lo
	s_or_b32 s5, s6, s5
.LBB5_75:
	s_or_b32 exec_lo, exec_lo, s28
	s_mov_b32 s6, 0
.LBB5_76:
	s_and_b32 vcc_lo, exec_lo, s6
	s_cbranch_vccz .LBB5_84
; %bb.77:
	s_and_saveexec_b32 s8, s25
	s_cbranch_execz .LBB5_83
; %bb.78:
	v_mad_u64_u32 v[0:1], null, s42, v41, 0
	s_lshl_b64 s[10:11], s[40:41], 2
	s_lshl_b64 s[6:7], s[36:37], 1
	s_mul_i32 s4, s43, s38
	v_sub_co_u32 v3, s6, s6, v43
	v_sub_co_ci_u32_e64 v4, null, s7, 0, s6
	v_mad_u64_u32 v[1:2], null, s43, v41, v[1:2]
	v_lshlrev_b32_e32 v2, 2, v43
	s_mul_hi_u32 s9, s42, s38
	v_mov_b32_e32 v44, 0
	v_sub_nc_u32_e32 v10, v41, v43
	s_add_i32 s7, s9, s4
	s_mul_i32 s6, s42, s38
	v_lshlrev_b64 v[0:1], 2, v[0:1]
	s_mov_b32 s9, 0
	s_lshl_b64 s[6:7], s[6:7], 2
	v_add_co_u32 v0, vcc_lo, v0, s10
	v_add_co_ci_u32_e64 v1, null, s11, v1, vcc_lo
	s_lshl_b32 s10, s39, 2
	v_add_co_u32 v2, vcc_lo, v0, v2
	v_add_co_ci_u32_e64 v5, null, 0, v1, vcc_lo
	v_add_co_u32 v0, vcc_lo, v3, 1
	v_add_co_ci_u32_e64 v1, null, 0, v4, vcc_lo
	;; [unrolled: 2-line block ×3, first 2 shown]
	s_branch .LBB5_80
.LBB5_79:                               ;   in Loop: Header=BB5_80 Depth=1
	s_inst_prefetch 0x2
	s_or_b32 exec_lo, exec_lo, s11
	v_add_co_u32 v41, vcc_lo, v41, s38
	v_add_co_ci_u32_e64 v42, null, 0, v42, vcc_lo
	v_add_co_u32 v2, s4, v2, s6
	v_add_nc_u32_e32 v10, s38, v10
	v_cmp_le_i64_e32 vcc_lo, s[36:37], v[41:42]
	v_add_co_ci_u32_e64 v3, null, s7, v3, s4
	s_or_b32 s9, vcc_lo, s9
	s_andn2_b32 exec_lo, exec_lo, s9
	s_cbranch_execz .LBB5_83
.LBB5_80:                               ; =>This Loop Header: Depth=1
                                        ;     Child Loop BB5_82 Depth 2
	s_mov_b32 s11, exec_lo
	v_cmpx_ge_u64_e64 v[41:42], v[43:44]
	s_cbranch_execz .LBB5_79
; %bb.81:                               ;   in Loop: Header=BB5_80 Depth=1
	v_mov_b32_e32 v5, v3
	v_mov_b32_e32 v7, v1
	;; [unrolled: 1-line block ×7, first 2 shown]
	s_mov_b32 s12, 0
	s_inst_prefetch 0x1
	.p2align	6
.LBB5_82:                               ;   Parent Loop BB5_80 Depth=1
                                        ; =>  This Inner Loop Header: Depth=2
	v_mul_lo_u32 v14, v7, v8
	v_mul_lo_u32 v15, v6, v9
	v_mad_u64_u32 v[12:13], null, v6, v8, 0
	v_add_co_u32 v8, vcc_lo, v8, s39
	v_add_co_ci_u32_e64 v9, null, 0, v9, vcc_lo
	v_sub_co_u32 v6, vcc_lo, v6, s39
	v_add3_u32 v13, v13, v15, v14
	v_subrev_co_ci_u32_e64 v7, null, 0, v7, vcc_lo
	v_cmp_gt_u64_e32 vcc_lo, v[8:9], v[41:42]
	v_lshrrev_b32_e32 v13, 31, v13
	s_or_b32 s12, vcc_lo, s12
	v_add_nc_u32_e32 v12, v12, v13
	v_lshrrev_b32_e32 v12, 1, v12
	v_add_nc_u32_e32 v12, v11, v12
	v_subrev_nc_u32_e32 v11, s39, v11
	v_lshl_add_u32 v12, v12, 2, 0
	ds_read_b32 v12, v12
	s_waitcnt lgkmcnt(0)
	flat_store_dword v[4:5], v12
	v_add_co_u32 v4, s4, v4, s10
	v_add_co_ci_u32_e64 v5, null, 0, v5, s4
	s_andn2_b32 exec_lo, exec_lo, s12
	s_cbranch_execnz .LBB5_82
	s_branch .LBB5_79
.LBB5_83:
	s_or_b32 exec_lo, exec_lo, s8
	s_mov_b32 s4, -1
.LBB5_84:
	s_and_saveexec_b32 s6, s4
	s_xor_b32 s4, exec_lo, s6
	s_cbranch_execz .LBB5_86
; %bb.85:
	s_waitcnt lgkmcnt(0)
	s_waitcnt_vscnt null, 0x0
	s_barrier
	buffer_gl0_inv
.LBB5_86:
	s_or_b32 exec_lo, exec_lo, s4
	s_andn2_b32 s4, s47, exec_lo
	s_and_b32 s5, s5, exec_lo
	s_or_b32 s47, s4, s5
.LBB5_87:
	s_or_b32 exec_lo, exec_lo, s46
	s_branch .LBB5_89
.LBB5_88:
	s_add_u32 s8, s26, 56
	s_addc_u32 s9, s27, 0
	s_getpc_b64 s[4:5]
	s_add_u32 s4, s4, .str.4@rel32@lo+4
	s_addc_u32 s5, s5, .str.4@rel32@hi+12
	s_getpc_b64 s[6:7]
	s_add_u32 s6, s6, __PRETTY_FUNCTION__._ZN9rocsolver6v33100L18potf2_kernel_smallIfllPKPfEEvbT0_T2_lS5_lPT1_@rel32@lo+4
	s_addc_u32 s7, s7, __PRETTY_FUNCTION__._ZN9rocsolver6v33100L18potf2_kernel_smallIfllPKPfEEvbT0_T2_lS5_lPT1_@rel32@hi+12
	v_mov_b32_e32 v0, s4
	v_mov_b32_e32 v1, s5
	;; [unrolled: 1-line block ×5, first 2 shown]
	s_getpc_b64 s[10:11]
	s_add_u32 s10, s10, __assert_fail@rel32@lo+4
	s_addc_u32 s11, s11, __assert_fail@rel32@hi+12
	s_swappc_b64 s[30:31], s[10:11]
	s_or_b32 s47, s47, exec_lo
.LBB5_89:
	s_branch .LBB5_91
.LBB5_90:
	s_add_u32 s8, s26, 56
	s_addc_u32 s9, s27, 0
	s_getpc_b64 s[4:5]
	s_add_u32 s4, s4, .str.3@rel32@lo+4
	s_addc_u32 s5, s5, .str.3@rel32@hi+12
	s_getpc_b64 s[6:7]
	s_add_u32 s6, s6, __PRETTY_FUNCTION__._ZN9rocsolver6v33100L18potf2_kernel_smallIfllPKPfEEvbT0_T2_lS5_lPT1_@rel32@lo+4
	s_addc_u32 s7, s7, __PRETTY_FUNCTION__._ZN9rocsolver6v33100L18potf2_kernel_smallIfllPKPfEEvbT0_T2_lS5_lPT1_@rel32@hi+12
	v_mov_b32_e32 v0, s4
	v_mov_b32_e32 v1, s5
	;; [unrolled: 1-line block ×5, first 2 shown]
	s_getpc_b64 s[10:11]
	s_add_u32 s10, s10, __assert_fail@rel32@lo+4
	s_addc_u32 s11, s11, __assert_fail@rel32@hi+12
	s_swappc_b64 s[30:31], s[10:11]
	s_or_b32 s47, s47, exec_lo
.LBB5_91:
	s_branch .LBB5_93
.LBB5_92:
	s_add_u32 s8, s26, 56
	s_addc_u32 s9, s27, 0
	s_getpc_b64 s[4:5]
	s_add_u32 s4, s4, .str.2@rel32@lo+4
	s_addc_u32 s5, s5, .str.2@rel32@hi+12
	s_getpc_b64 s[6:7]
	s_add_u32 s6, s6, __PRETTY_FUNCTION__._ZN9rocsolver6v33100L18potf2_kernel_smallIfllPKPfEEvbT0_T2_lS5_lPT1_@rel32@lo+4
	s_addc_u32 s7, s7, __PRETTY_FUNCTION__._ZN9rocsolver6v33100L18potf2_kernel_smallIfllPKPfEEvbT0_T2_lS5_lPT1_@rel32@hi+12
	v_mov_b32_e32 v0, s4
	v_mov_b32_e32 v1, s5
	v_mov_b32_e32 v2, 0x12b
	v_mov_b32_e32 v3, s6
	v_mov_b32_e32 v4, s7
	s_getpc_b64 s[10:11]
	s_add_u32 s10, s10, __assert_fail@rel32@lo+4
	s_addc_u32 s11, s11, __assert_fail@rel32@hi+12
	s_swappc_b64 s[30:31], s[10:11]
	s_or_b32 s47, s47, exec_lo
.LBB5_93:
	s_and_saveexec_b32 s4, s47
; %bb.94:
	; divergent unreachable
; %bb.95:
	s_endpgm
	.section	.rodata,"a",@progbits
	.p2align	6, 0x0
	.amdhsa_kernel _ZN9rocsolver6v33100L18potf2_kernel_smallIfllPKPfEEvbT0_T2_lS5_lPT1_
		.amdhsa_group_segment_fixed_size 0
		.amdhsa_private_segment_fixed_size 64
		.amdhsa_kernarg_size 312
		.amdhsa_user_sgpr_count 8
		.amdhsa_user_sgpr_private_segment_buffer 1
		.amdhsa_user_sgpr_dispatch_ptr 0
		.amdhsa_user_sgpr_queue_ptr 0
		.amdhsa_user_sgpr_kernarg_segment_ptr 1
		.amdhsa_user_sgpr_dispatch_id 0
		.amdhsa_user_sgpr_flat_scratch_init 1
		.amdhsa_user_sgpr_private_segment_size 0
		.amdhsa_wavefront_size32 1
		.amdhsa_uses_dynamic_stack 0
		.amdhsa_system_sgpr_private_segment_wavefront_offset 1
		.amdhsa_system_sgpr_workgroup_id_x 1
		.amdhsa_system_sgpr_workgroup_id_y 0
		.amdhsa_system_sgpr_workgroup_id_z 1
		.amdhsa_system_sgpr_workgroup_info 0
		.amdhsa_system_vgpr_workitem_id 2
		.amdhsa_next_free_vgpr 50
		.amdhsa_next_free_sgpr 48
		.amdhsa_reserve_vcc 1
		.amdhsa_reserve_flat_scratch 1
		.amdhsa_float_round_mode_32 0
		.amdhsa_float_round_mode_16_64 0
		.amdhsa_float_denorm_mode_32 3
		.amdhsa_float_denorm_mode_16_64 3
		.amdhsa_dx10_clamp 1
		.amdhsa_ieee_mode 1
		.amdhsa_fp16_overflow 0
		.amdhsa_workgroup_processor_mode 1
		.amdhsa_memory_ordered 1
		.amdhsa_forward_progress 1
		.amdhsa_shared_vgpr_count 0
		.amdhsa_exception_fp_ieee_invalid_op 0
		.amdhsa_exception_fp_denorm_src 0
		.amdhsa_exception_fp_ieee_div_zero 0
		.amdhsa_exception_fp_ieee_overflow 0
		.amdhsa_exception_fp_ieee_underflow 0
		.amdhsa_exception_fp_ieee_inexact 0
		.amdhsa_exception_int_div_zero 0
	.end_amdhsa_kernel
	.section	.text._ZN9rocsolver6v33100L18potf2_kernel_smallIfllPKPfEEvbT0_T2_lS5_lPT1_,"axG",@progbits,_ZN9rocsolver6v33100L18potf2_kernel_smallIfllPKPfEEvbT0_T2_lS5_lPT1_,comdat
.Lfunc_end5:
	.size	_ZN9rocsolver6v33100L18potf2_kernel_smallIfllPKPfEEvbT0_T2_lS5_lPT1_, .Lfunc_end5-_ZN9rocsolver6v33100L18potf2_kernel_smallIfllPKPfEEvbT0_T2_lS5_lPT1_
                                        ; -- End function
	.set _ZN9rocsolver6v33100L18potf2_kernel_smallIfllPKPfEEvbT0_T2_lS5_lPT1_.num_vgpr, max(48, .L__assert_fail.num_vgpr)
	.set _ZN9rocsolver6v33100L18potf2_kernel_smallIfllPKPfEEvbT0_T2_lS5_lPT1_.num_agpr, max(0, .L__assert_fail.num_agpr)
	.set _ZN9rocsolver6v33100L18potf2_kernel_smallIfllPKPfEEvbT0_T2_lS5_lPT1_.numbered_sgpr, max(48, .L__assert_fail.numbered_sgpr)
	.set _ZN9rocsolver6v33100L18potf2_kernel_smallIfllPKPfEEvbT0_T2_lS5_lPT1_.num_named_barrier, max(0, .L__assert_fail.num_named_barrier)
	.set _ZN9rocsolver6v33100L18potf2_kernel_smallIfllPKPfEEvbT0_T2_lS5_lPT1_.private_seg_size, 0+max(.L__assert_fail.private_seg_size)
	.set _ZN9rocsolver6v33100L18potf2_kernel_smallIfllPKPfEEvbT0_T2_lS5_lPT1_.uses_vcc, or(1, .L__assert_fail.uses_vcc)
	.set _ZN9rocsolver6v33100L18potf2_kernel_smallIfllPKPfEEvbT0_T2_lS5_lPT1_.uses_flat_scratch, or(1, .L__assert_fail.uses_flat_scratch)
	.set _ZN9rocsolver6v33100L18potf2_kernel_smallIfllPKPfEEvbT0_T2_lS5_lPT1_.has_dyn_sized_stack, or(0, .L__assert_fail.has_dyn_sized_stack)
	.set _ZN9rocsolver6v33100L18potf2_kernel_smallIfllPKPfEEvbT0_T2_lS5_lPT1_.has_recursion, or(0, .L__assert_fail.has_recursion)
	.set _ZN9rocsolver6v33100L18potf2_kernel_smallIfllPKPfEEvbT0_T2_lS5_lPT1_.has_indirect_call, or(0, .L__assert_fail.has_indirect_call)
	.section	.AMDGPU.csdata,"",@progbits
; Kernel info:
; codeLenInByte = 4432
; TotalNumSgprs: 50
; NumVgprs: 50
; ScratchSize: 64
; MemoryBound: 1
; FloatMode: 240
; IeeeMode: 1
; LDSByteSize: 0 bytes/workgroup (compile time only)
; SGPRBlocks: 0
; VGPRBlocks: 6
; NumSGPRsForWavesPerEU: 50
; NumVGPRsForWavesPerEU: 50
; Occupancy: 16
; WaveLimiterHint : 1
; COMPUTE_PGM_RSRC2:SCRATCH_EN: 1
; COMPUTE_PGM_RSRC2:USER_SGPR: 8
; COMPUTE_PGM_RSRC2:TRAP_HANDLER: 0
; COMPUTE_PGM_RSRC2:TGID_X_EN: 1
; COMPUTE_PGM_RSRC2:TGID_Y_EN: 0
; COMPUTE_PGM_RSRC2:TGID_Z_EN: 1
; COMPUTE_PGM_RSRC2:TIDIG_COMP_CNT: 2
	.section	.text._ZN9rocsolver6v33100L18potf2_kernel_smallIfliPfEEvbT0_T2_lS3_lPT1_,"axG",@progbits,_ZN9rocsolver6v33100L18potf2_kernel_smallIfliPfEEvbT0_T2_lS3_lPT1_,comdat
	.globl	_ZN9rocsolver6v33100L18potf2_kernel_smallIfliPfEEvbT0_T2_lS3_lPT1_ ; -- Begin function _ZN9rocsolver6v33100L18potf2_kernel_smallIfliPfEEvbT0_T2_lS3_lPT1_
	.p2align	8
	.type	_ZN9rocsolver6v33100L18potf2_kernel_smallIfliPfEEvbT0_T2_lS3_lPT1_,@function
_ZN9rocsolver6v33100L18potf2_kernel_smallIfliPfEEvbT0_T2_lS3_lPT1_: ; @_ZN9rocsolver6v33100L18potf2_kernel_smallIfliPfEEvbT0_T2_lS3_lPT1_
; %bb.0:
	s_add_u32 s6, s6, s10
	s_mov_b32 s32, 0
	s_addc_u32 s7, s7, 0
	s_setreg_b32 hwreg(HW_REG_FLAT_SCR_LO), s6
	s_setreg_b32 hwreg(HW_REG_FLAT_SCR_HI), s7
	s_load_dwordx2 s[34:35], s[4:5], 0x44
	s_add_u32 s0, s0, s10
	v_mov_b32_e32 v45, v2
	v_mov_b32_e32 v41, v1
	;; [unrolled: 1-line block ×3, first 2 shown]
	s_addc_u32 s1, s1, 0
	s_mov_b64 s[26:27], s[4:5]
	s_mov_b32 s28, s9
	s_waitcnt lgkmcnt(0)
	s_and_b32 s4, s35, 0xffff
	s_cmp_eq_u32 s4, 1
	s_cbranch_scc1 .LBB6_2
; %bb.1:
	s_add_u32 s8, s26, 56
	s_addc_u32 s9, s27, 0
	s_getpc_b64 s[4:5]
	s_add_u32 s4, s4, .str@rel32@lo+4
	s_addc_u32 s5, s5, .str@rel32@hi+12
	s_getpc_b64 s[6:7]
	s_add_u32 s6, s6, __PRETTY_FUNCTION__._ZN9rocsolver6v33100L18potf2_kernel_smallIfliPfEEvbT0_T2_lS3_lPT1_@rel32@lo+4
	s_addc_u32 s7, s7, __PRETTY_FUNCTION__._ZN9rocsolver6v33100L18potf2_kernel_smallIfliPfEEvbT0_T2_lS3_lPT1_@rel32@hi+12
	v_mov_b32_e32 v0, s4
	v_mov_b32_e32 v1, s5
	;; [unrolled: 1-line block ×5, first 2 shown]
	s_getpc_b64 s[10:11]
	s_add_u32 s10, s10, __assert_fail@rel32@lo+4
	s_addc_u32 s11, s11, __assert_fail@rel32@hi+12
	s_swappc_b64 s[30:31], s[10:11]
	s_mov_b32 s35, -1
	s_cbranch_execz .LBB6_3
	s_branch .LBB6_93
.LBB6_2:
	s_mov_b32 s35, 0
.LBB6_3:
	s_load_dwordx8 s[36:43], s[26:27], 0x8
	s_waitcnt lgkmcnt(0)
	s_cmp_lg_u64 s[38:39], 0
	s_cbranch_scc0 .LBB6_18
; %bb.4:
	s_load_dwordx4 s[44:47], s[26:27], 0x28
	s_waitcnt lgkmcnt(0)
	s_cmp_lg_u64 s[46:47], 0
	s_cbranch_scc0 .LBB6_19
; %bb.5:
	s_cmp_lg_u64 s[38:39], 0
	s_cbranch_scc0 .LBB6_20
; %bb.6:
	s_load_dword s5, s[26:27], 0x0
	v_mov_b32_e32 v42, 0
	s_mov_b32 s29, 0
	s_mov_b32 s4, -1
	s_waitcnt lgkmcnt(0)
	s_waitcnt_vscnt null, 0x0
	s_barrier
	v_cmp_gt_i64_e64 s25, s[36:37], v[41:42]
	buffer_gl0_inv
	s_bitcmp1_b32 s5, 0
	s_cselect_b32 s5, -1, 0
	s_lshr_b32 s48, s34, 16
	s_xor_b32 s50, s5, -1
	s_and_b32 s34, s34, 0xffff
	s_and_b32 vcc_lo, exec_lo, s50
	s_cbranch_vccz .LBB6_21
; %bb.7:
	s_mov_b32 s5, -1
	s_and_saveexec_b32 s49, s25
	s_cbranch_execz .LBB6_25
; %bb.8:
	v_mad_u64_u32 v[2:3], null, s42, v41, 0
	v_mov_b32_e32 v1, 0
	s_mul_i32 s5, s45, s28
	s_mul_hi_u32 s9, s44, s28
	s_mul_i32 s4, s44, s28
	s_add_i32 s5, s9, s5
	s_lshl_b64 s[6:7], s[36:37], 1
	v_mov_b32_e32 v0, v3
	s_lshl_b64 s[10:11], s[40:41], 2
	s_lshl_b64 s[4:5], s[4:5], 2
	s_or_b32 s6, s6, 1
	s_add_u32 s9, s10, s4
	v_mad_u64_u32 v[3:4], null, s43, v41, v[0:1]
	s_addc_u32 s10, s11, s5
	v_add_lshl_u32 v4, v41, v43, 2
	s_lshl_b64 s[4:5], s[42:43], 2
	v_add_nc_u32_e32 v0, v41, v43
	s_add_u32 s4, s4, 4
	s_addc_u32 s5, s5, 0
	v_lshlrev_b64 v[2:3], 2, v[2:3]
	s_mul_i32 s5, s5, s48
	s_mov_b32 s8, 0
	s_mul_i32 s11, s4, s48
	s_lshl_b32 s12, s34, 2
                                        ; implicit-def: $sgpr13
	v_add_co_u32 v2, vcc_lo, s9, v2
	v_add_co_ci_u32_e64 v3, null, s10, v3, vcc_lo
	s_mul_hi_u32 s9, s4, s48
	v_add_co_u32 v2, vcc_lo, v2, v4
	v_add_co_ci_u32_e64 v3, null, 0, v3, vcc_lo
	v_mov_b32_e32 v4, v41
	v_add_co_u32 v2, vcc_lo, s38, v2
	v_add_co_ci_u32_e64 v3, null, s39, v3, vcc_lo
	v_mov_b32_e32 v5, v42
	s_add_i32 s10, s9, s5
                                        ; implicit-def: $sgpr9
	s_branch .LBB6_10
.LBB6_9:                                ;   in Loop: Header=BB6_10 Depth=1
	s_or_b32 exec_lo, exec_lo, s5
	s_and_b32 s4, exec_lo, s4
	s_or_b32 s8, s4, s8
	s_andn2_b32 s4, s9, exec_lo
	s_and_b32 s5, s13, exec_lo
	s_or_b32 s9, s4, s5
	s_andn2_b32 exec_lo, exec_lo, s8
	s_cbranch_execz .LBB6_22
.LBB6_10:                               ; =>This Loop Header: Depth=1
                                        ;     Child Loop BB6_13 Depth 2
	v_add_co_u32 v6, vcc_lo, v4, v43
	v_add_co_ci_u32_e64 v7, null, 0, v5, vcc_lo
	s_mov_b32 s15, -1
	s_mov_b32 s14, exec_lo
	v_cmpx_gt_i64_e64 s[36:37], v[6:7]
	s_cbranch_execz .LBB6_16
; %bb.11:                               ;   in Loop: Header=BB6_10 Depth=1
	v_sub_co_u32 v8, vcc_lo, s6, v4
	v_sub_co_ci_u32_e64 v9, null, s7, v5, vcc_lo
	s_mov_b32 s15, 0
	v_mul_lo_u32 v11, v8, v5
	v_cmp_ge_u64_e32 vcc_lo, v[0:1], v[4:5]
	v_mul_lo_u32 v10, v9, v4
	v_mad_u64_u32 v[8:9], null, v8, v4, 0
                                        ; implicit-def: $sgpr16
                                        ; implicit-def: $sgpr18
                                        ; implicit-def: $sgpr17
	v_add3_u32 v9, v9, v11, v10
	v_lshrrev_b32_e32 v9, 31, v9
	v_add_nc_u32_e32 v8, v8, v9
	v_lshrrev_b32_e32 v8, 1, v8
	v_add_nc_u32_e32 v8, v43, v8
	v_lshl_add_u32 v10, v8, 2, 0
	v_mov_b32_e32 v9, v3
	v_mov_b32_e32 v8, v2
	s_inst_prefetch 0x1
	s_branch .LBB6_13
	.p2align	6
.LBB6_12:                               ;   in Loop: Header=BB6_13 Depth=2
	s_or_b32 exec_lo, exec_lo, s19
	s_xor_b32 s4, s17, -1
	s_and_b32 s5, exec_lo, s18
	s_or_b32 s15, s5, s15
	s_andn2_b32 s5, s16, exec_lo
	s_and_b32 s4, s4, exec_lo
	s_or_b32 s16, s5, s4
	s_andn2_b32 exec_lo, exec_lo, s15
	s_cbranch_execz .LBB6_15
.LBB6_13:                               ;   Parent Loop BB6_10 Depth=1
                                        ; =>  This Inner Loop Header: Depth=2
	s_or_b32 s17, s17, exec_lo
	s_or_b32 s18, s18, exec_lo
	s_and_saveexec_b32 s19, vcc_lo
	s_cbranch_execz .LBB6_12
; %bb.14:                               ;   in Loop: Header=BB6_13 Depth=2
	global_load_dword v11, v[8:9], off
	v_add_co_u32 v6, s4, v6, s34
	v_add_co_ci_u32_e64 v7, null, 0, v7, s4
	v_add_co_u32 v8, s5, v8, s12
	v_add_co_ci_u32_e64 v9, null, 0, v9, s5
	v_cmp_le_i64_e64 s4, s[36:37], v[6:7]
	s_andn2_b32 s5, s18, exec_lo
	s_andn2_b32 s17, s17, exec_lo
	s_and_b32 s4, s4, exec_lo
	s_or_b32 s18, s5, s4
	s_waitcnt vmcnt(0)
	ds_write_b32 v10, v11
	v_add_nc_u32_e32 v10, s12, v10
	s_branch .LBB6_12
.LBB6_15:                               ;   in Loop: Header=BB6_10 Depth=1
	s_inst_prefetch 0x2
	s_or_b32 exec_lo, exec_lo, s15
	s_orn2_b32 s15, s16, exec_lo
.LBB6_16:                               ;   in Loop: Header=BB6_10 Depth=1
	s_or_b32 exec_lo, exec_lo, s14
	s_mov_b32 s4, -1
	s_or_b32 s13, s13, exec_lo
	s_and_saveexec_b32 s5, s15
	s_cbranch_execz .LBB6_9
; %bb.17:                               ;   in Loop: Header=BB6_10 Depth=1
	v_add_co_u32 v4, vcc_lo, v4, s48
	v_add_co_ci_u32_e64 v5, null, 0, v5, vcc_lo
	v_add_co_u32 v0, vcc_lo, v0, s48
	v_add_co_ci_u32_e64 v1, null, 0, v1, vcc_lo
	v_cmp_le_i64_e32 vcc_lo, s[36:37], v[4:5]
	v_add_co_u32 v2, s4, v2, s11
	v_add_co_ci_u32_e64 v3, null, s10, v3, s4
	s_andn2_b32 s13, s13, exec_lo
	s_orn2_b32 s4, vcc_lo, exec_lo
	s_branch .LBB6_9
.LBB6_18:
	s_cbranch_execnz .LBB6_92
	s_branch .LBB6_93
.LBB6_19:
	s_cbranch_execnz .LBB6_90
	s_branch .LBB6_91
.LBB6_20:
	s_cbranch_execnz .LBB6_88
	s_branch .LBB6_89
.LBB6_21:
	s_mov_b32 s5, s29
	s_and_b32 vcc_lo, exec_lo, s4
	s_cbranch_vccnz .LBB6_26
	s_branch .LBB6_33
.LBB6_22:
	s_or_b32 exec_lo, exec_lo, s8
	s_mov_b32 s4, -1
	s_mov_b32 s5, s35
	s_and_saveexec_b32 s6, s9
	s_xor_b32 s51, exec_lo, s6
	s_cbranch_execz .LBB6_24
; %bb.23:
	s_add_u32 s8, s26, 56
	s_addc_u32 s9, s27, 0
	s_getpc_b64 s[4:5]
	s_add_u32 s4, s4, .str.10@rel32@lo+4
	s_addc_u32 s5, s5, .str.10@rel32@hi+12
	s_getpc_b64 s[6:7]
	s_add_u32 s6, s6, __PRETTY_FUNCTION__._ZN9rocsolver6v33100L9idx_lowerIlEET_S2_S2_S2_@rel32@lo+4
	s_addc_u32 s7, s7, __PRETTY_FUNCTION__._ZN9rocsolver6v33100L9idx_lowerIlEET_S2_S2_S2_@rel32@hi+12
	v_mov_b32_e32 v0, s4
	v_mov_b32_e32 v1, s5
	;; [unrolled: 1-line block ×5, first 2 shown]
	s_getpc_b64 s[10:11]
	s_add_u32 s10, s10, __assert_fail@rel32@lo+4
	s_addc_u32 s11, s11, __assert_fail@rel32@hi+12
	s_swappc_b64 s[30:31], s[10:11]
	s_or_b32 s5, s35, exec_lo
	s_xor_b32 s4, exec_lo, -1
.LBB6_24:
	s_or_b32 exec_lo, exec_lo, s51
	s_andn2_b32 s6, s35, exec_lo
	s_and_b32 s5, s5, exec_lo
	s_or_b32 s35, s6, s5
	s_orn2_b32 s5, s4, exec_lo
.LBB6_25:
	s_or_b32 exec_lo, exec_lo, s49
	s_branch .LBB6_33
.LBB6_26:
	s_and_saveexec_b32 s5, s25
	s_cbranch_execz .LBB6_32
; %bb.27:
	v_mad_u64_u32 v[0:1], null, s42, v41, 0
	s_mul_i32 s4, s45, s28
	s_mul_hi_u32 s9, s44, s28
	s_lshl_b64 s[6:7], s[36:37], 1
	s_mul_i32 s8, s44, s28
	s_add_i32 s9, s9, s4
	s_lshl_b64 s[10:11], s[40:41], 2
	v_mad_u64_u32 v[1:2], null, s43, v41, v[1:2]
	s_lshl_b64 s[8:9], s[8:9], 2
	v_sub_co_u32 v3, s4, s6, v43
	v_sub_co_ci_u32_e64 v4, null, s7, 0, s4
	s_add_u32 s4, s10, s8
	v_lshlrev_b64 v[0:1], 2, v[0:1]
	v_lshlrev_b32_e32 v2, 2, v43
	s_addc_u32 s6, s11, s9
	s_mul_i32 s13, s43, s48
	s_mul_hi_u32 s14, s42, s48
	v_mov_b32_e32 v44, 0
	v_add_co_u32 v5, vcc_lo, s4, v0
	v_add_co_ci_u32_e64 v6, null, s6, v1, vcc_lo
	v_add_co_u32 v0, vcc_lo, v3, 1
	v_add_co_ci_u32_e64 v1, null, 0, v4, vcc_lo
	;; [unrolled: 2-line block ×3, first 2 shown]
	v_mov_b32_e32 v4, v41
	v_add_co_u32 v2, vcc_lo, s38, v2
	v_sub_nc_u32_e32 v12, v41, v43
	v_add_co_ci_u32_e64 v3, null, s39, v3, vcc_lo
	v_mov_b32_e32 v5, v42
	s_mul_i32 s12, s42, s48
	s_add_i32 s13, s14, s13
	s_mov_b32 s8, 0
	s_lshl_b64 s[6:7], s[12:13], 2
	s_lshl_b32 s9, s34, 2
	s_branch .LBB6_29
.LBB6_28:                               ;   in Loop: Header=BB6_29 Depth=1
	s_inst_prefetch 0x2
	s_or_b32 exec_lo, exec_lo, s10
	v_add_co_u32 v4, vcc_lo, v4, s48
	v_add_co_ci_u32_e64 v5, null, 0, v5, vcc_lo
	v_add_co_u32 v2, s4, v2, s6
	v_add_nc_u32_e32 v12, s48, v12
	v_cmp_le_i64_e32 vcc_lo, s[36:37], v[4:5]
	v_add_co_ci_u32_e64 v3, null, s7, v3, s4
	s_or_b32 s8, vcc_lo, s8
	s_andn2_b32 exec_lo, exec_lo, s8
	s_cbranch_execz .LBB6_32
.LBB6_29:                               ; =>This Loop Header: Depth=1
                                        ;     Child Loop BB6_31 Depth 2
	s_mov_b32 s10, exec_lo
	v_cmpx_ge_u64_e64 v[4:5], v[43:44]
	s_cbranch_execz .LBB6_28
; %bb.30:                               ;   in Loop: Header=BB6_29 Depth=1
	v_mov_b32_e32 v7, v3
	v_mov_b32_e32 v9, v1
	;; [unrolled: 1-line block ×7, first 2 shown]
	s_mov_b32 s11, 0
	s_inst_prefetch 0x1
	.p2align	6
.LBB6_31:                               ;   Parent Loop BB6_29 Depth=1
                                        ; =>  This Inner Loop Header: Depth=2
	global_load_dword v16, v[6:7], off
	v_mul_lo_u32 v17, v9, v10
	v_mul_lo_u32 v18, v8, v11
	v_mad_u64_u32 v[14:15], null, v8, v10, 0
	v_add_co_u32 v10, vcc_lo, v10, s34
	v_add_co_ci_u32_e64 v11, null, 0, v11, vcc_lo
	v_sub_co_u32 v8, vcc_lo, v8, s34
	v_add3_u32 v15, v15, v18, v17
	v_cmp_gt_u64_e64 s4, v[10:11], v[4:5]
	v_subrev_co_ci_u32_e64 v9, null, 0, v9, vcc_lo
	v_add_co_u32 v6, vcc_lo, v6, s9
	v_lshrrev_b32_e32 v15, 31, v15
	v_add_co_ci_u32_e64 v7, null, 0, v7, vcc_lo
	s_or_b32 s11, s4, s11
	v_add_nc_u32_e32 v14, v14, v15
	v_lshrrev_b32_e32 v14, 1, v14
	v_add_nc_u32_e32 v14, v13, v14
	v_subrev_nc_u32_e32 v13, s34, v13
	v_lshl_add_u32 v14, v14, 2, 0
	s_waitcnt vmcnt(0)
	ds_write_b32 v14, v16
	s_andn2_b32 exec_lo, exec_lo, s11
	s_cbranch_execnz .LBB6_31
	s_branch .LBB6_28
.LBB6_32:
	s_or_b32 exec_lo, exec_lo, s5
	s_mov_b32 s5, -1
.LBB6_33:
	s_and_saveexec_b32 s49, s5
	s_cbranch_execz .LBB6_87
; %bb.34:
	v_cmp_lt_i64_e64 s4, s[36:37], 1
	s_waitcnt lgkmcnt(0)
	s_waitcnt_vscnt null, 0x0
	s_barrier
	buffer_gl0_inv
	s_and_b32 vcc_lo, exec_lo, s4
	s_cbranch_vccnz .LBB6_59
; %bb.35:
	s_mul_i32 s16, s48, s34
	v_mul_u32_u24_e32 v1, s34, v41
	v_mul_lo_u32 v0, s16, v45
	s_lshl_b64 s[4:5], s[28:29], 2
	v_mov_b32_e32 v6, 0
	s_add_u32 s6, s46, s4
	v_sub_nc_u32_e32 v8, v43, v41
	s_addc_u32 s7, s47, s5
	s_lshl_b64 s[8:9], s[36:37], 1
	s_lshl_b32 s17, s16, 2
	v_add3_u32 v7, v1, v43, v0
	s_or_b32 s8, s8, 1
	s_lshl_b32 s18, s34, 2
	s_mov_b64 s[12:13], 0
	s_mov_b64 s[10:11], 0
	v_cmp_eq_u32_e64 s4, 0, v7
	s_branch .LBB6_37
.LBB6_36:                               ;   in Loop: Header=BB6_37 Depth=1
	s_andn2_b32 vcc_lo, exec_lo, s5
	s_cbranch_vccz .LBB6_59
.LBB6_37:                               ; =>This Loop Header: Depth=1
                                        ;     Child Loop BB6_48 Depth 2
                                        ;     Child Loop BB6_52 Depth 2
                                        ;       Child Loop BB6_55 Depth 3
	s_add_u32 s5, s12, s8
	s_addc_u32 s13, s13, s9
	s_mul_i32 s14, s5, s11
	s_mul_hi_u32 s15, s5, s10
	s_mul_i32 s13, s13, s10
	s_add_i32 s14, s15, s14
	s_mul_i32 s5, s5, s10
	s_add_i32 s13, s14, s13
	s_lshr_b32 s14, s13, 31
	s_add_u32 s14, s5, s14
	s_addc_u32 s15, s13, 0
	s_ashr_i64 s[14:15], s[14:15], 1
	s_lshl_b32 s5, s14, 2
	s_add_i32 s15, s5, 0
	s_mov_b32 s5, -1
	v_mov_b32_e32 v0, s15
	ds_read_b32 v0, v0
	s_waitcnt lgkmcnt(0)
	v_cmp_class_f32_e64 s13, v0, 0x180
	s_and_b32 vcc_lo, exec_lo, s13
	s_cbranch_vccz .LBB6_40
; %bb.38:                               ;   in Loop: Header=BB6_37 Depth=1
	s_andn2_b32 vcc_lo, exec_lo, s5
	s_cbranch_vccz .LBB6_44
.LBB6_39:                               ;   in Loop: Header=BB6_37 Depth=1
	s_and_b32 vcc_lo, exec_lo, s13
	s_mov_b32 s5, -1
                                        ; implicit-def: $sgpr12_sgpr13
	s_cbranch_vccz .LBB6_36
	s_branch .LBB6_58
.LBB6_40:                               ;   in Loop: Header=BB6_37 Depth=1
	s_and_saveexec_b32 s5, s4
	s_cbranch_execz .LBB6_43
; %bb.41:                               ;   in Loop: Header=BB6_37 Depth=1
	global_load_dword v1, v6, s[6:7]
	s_waitcnt vmcnt(0)
	v_cmp_ne_u32_e32 vcc_lo, 0, v1
	s_cbranch_vccnz .LBB6_43
; %bb.42:                               ;   in Loop: Header=BB6_37 Depth=1
	s_add_i32 s19, s10, 1
	v_mov_b32_e32 v1, s19
	global_store_dword v6, v1, s[6:7]
.LBB6_43:                               ;   in Loop: Header=BB6_37 Depth=1
	s_or_b32 exec_lo, exec_lo, s5
	s_cbranch_execnz .LBB6_39
.LBB6_44:                               ;   in Loop: Header=BB6_37 Depth=1
	v_mul_f32_e32 v1, 0x4f800000, v0
	v_cmp_gt_f32_e32 vcc_lo, 0xf800000, v0
	v_cndmask_b32_e32 v0, v0, v1, vcc_lo
	v_sqrt_f32_e32 v1, v0
	v_add_nc_u32_e32 v2, -1, v1
	v_add_nc_u32_e32 v3, 1, v1
	v_fma_f32 v4, -v2, v1, v0
	v_fma_f32 v5, -v3, v1, v0
	v_cmp_ge_f32_e64 s5, 0, v4
	v_cndmask_b32_e64 v1, v1, v2, s5
	v_cmp_lt_f32_e64 s5, 0, v5
	v_cndmask_b32_e64 v1, v1, v3, s5
	v_mul_f32_e32 v2, 0x37800000, v1
	v_cndmask_b32_e32 v1, v1, v2, vcc_lo
	v_cmp_class_f32_e64 vcc_lo, v0, 0x260
	v_cndmask_b32_e32 v2, v1, v0, vcc_lo
	s_and_saveexec_b32 s5, s4
; %bb.45:                               ;   in Loop: Header=BB6_37 Depth=1
	v_mov_b32_e32 v0, s15
	ds_write_b32 v0, v2
; %bb.46:                               ;   in Loop: Header=BB6_37 Depth=1
	s_or_b32 exec_lo, exec_lo, s5
	s_add_u32 s5, s10, 1
	s_addc_u32 s19, s11, 0
	v_add_co_u32 v0, s15, s5, v7
	v_add_co_ci_u32_e64 v1, null, s19, 0, s15
	s_mov_b32 s15, exec_lo
	s_waitcnt lgkmcnt(0)
	s_waitcnt_vscnt null, 0x0
	s_barrier
	buffer_gl0_inv
	v_cmpx_gt_i64_e64 s[36:37], v[0:1]
	s_cbranch_execz .LBB6_49
; %bb.47:                               ;   in Loop: Header=BB6_37 Depth=1
	v_add_lshl_u32 v3, v7, s14, 2
	s_mov_b32 s20, 0
	v_add3_u32 v3, 0, 4, v3
	.p2align	6
.LBB6_48:                               ;   Parent Loop BB6_37 Depth=1
                                        ; =>  This Inner Loop Header: Depth=2
	ds_read_b32 v4, v3
	s_waitcnt lgkmcnt(0)
	v_div_scale_f32 v5, null, v2, v2, v4
	v_div_scale_f32 v11, vcc_lo, v4, v2, v4
	v_rcp_f32_e32 v9, v5
	v_fma_f32 v10, -v5, v9, 1.0
	v_fmac_f32_e32 v9, v10, v9
	v_mul_f32_e32 v10, v11, v9
	v_fma_f32 v12, -v5, v10, v11
	v_fmac_f32_e32 v10, v12, v9
	v_fma_f32 v5, -v5, v10, v11
	v_div_fmas_f32 v5, v5, v9, v10
	v_add_co_u32 v0, vcc_lo, v0, s16
	v_add_co_ci_u32_e64 v1, null, 0, v1, vcc_lo
	v_div_fixup_f32 v4, v5, v2, v4
	v_cmp_le_i64_e32 vcc_lo, s[36:37], v[0:1]
	ds_write_b32 v3, v4
	v_add_nc_u32_e32 v3, s17, v3
	s_or_b32 s20, vcc_lo, s20
	s_andn2_b32 exec_lo, exec_lo, s20
	s_cbranch_execnz .LBB6_48
.LBB6_49:                               ;   in Loop: Header=BB6_37 Depth=1
	s_or_b32 exec_lo, exec_lo, s15
	v_add_co_u32 v0, s15, s5, v41
	v_add_co_ci_u32_e64 v1, null, s19, 0, s15
	s_mov_b32 s15, exec_lo
	s_waitcnt lgkmcnt(0)
	s_barrier
	buffer_gl0_inv
	v_cmpx_gt_i64_e64 s[36:37], v[0:1]
	s_cbranch_execz .LBB6_57
; %bb.50:                               ;   in Loop: Header=BB6_37 Depth=1
	v_add_co_u32 v2, s5, s5, v43
	v_add_co_ci_u32_e64 v3, null, s19, 0, s5
	v_add_lshl_u32 v9, v43, s14, 2
	v_mov_b32_e32 v10, v8
	s_add_u32 s12, s14, s12
	s_mov_b32 s14, 0
	v_cmp_gt_i64_e32 vcc_lo, s[36:37], v[2:3]
	s_branch .LBB6_52
.LBB6_51:                               ;   in Loop: Header=BB6_52 Depth=2
	s_inst_prefetch 0x2
	s_or_b32 exec_lo, exec_lo, s19
	v_add_co_u32 v0, s5, v0, s48
	v_add_co_ci_u32_e64 v1, null, 0, v1, s5
	v_subrev_nc_u32_e32 v10, s48, v10
	v_cmp_le_i64_e64 s5, s[36:37], v[0:1]
	s_or_b32 s14, s5, s14
	s_andn2_b32 exec_lo, exec_lo, s14
	s_cbranch_execz .LBB6_57
.LBB6_52:                               ;   Parent Loop BB6_37 Depth=1
                                        ; =>  This Loop Header: Depth=2
                                        ;       Child Loop BB6_55 Depth 3
	s_and_saveexec_b32 s19, vcc_lo
	s_cbranch_execz .LBB6_51
; %bb.53:                               ;   in Loop: Header=BB6_52 Depth=2
	v_sub_co_u32 v4, s5, s8, v0
	v_sub_co_ci_u32_e64 v5, null, s9, v1, s5
	v_add_nc_u32_e32 v13, s12, v0
	v_mul_lo_u32 v12, v4, v1
	s_mov_b32 s20, 0
	s_waitcnt lgkmcnt(0)
	v_mul_lo_u32 v11, v5, v0
	v_mad_u64_u32 v[4:5], null, v4, v0, 0
	s_mov_b32 s21, 0
	v_add3_u32 v5, v5, v12, v11
	v_lshl_add_u32 v11, v13, 2, 0
	v_lshrrev_b32_e32 v5, 31, v5
	ds_read_b32 v11, v11
	v_add_nc_u32_e32 v4, v4, v5
	v_lshrrev_b32_e32 v4, 1, v4
	v_add_lshl_u32 v12, v10, v4, 2
	v_mov_b32_e32 v5, v3
	v_mov_b32_e32 v4, v2
	s_inst_prefetch 0x1
	s_branch .LBB6_55
	.p2align	6
.LBB6_54:                               ;   in Loop: Header=BB6_55 Depth=3
	s_or_b32 exec_lo, exec_lo, s22
	v_add_co_u32 v4, s5, v4, s34
	v_add_co_ci_u32_e64 v5, null, 0, v5, s5
	s_add_i32 s21, s21, s18
	v_cmp_le_i64_e64 s5, s[36:37], v[4:5]
	s_or_b32 s20, s5, s20
	s_andn2_b32 exec_lo, exec_lo, s20
	s_cbranch_execz .LBB6_51
.LBB6_55:                               ;   Parent Loop BB6_37 Depth=1
                                        ;     Parent Loop BB6_52 Depth=2
                                        ; =>    This Inner Loop Header: Depth=3
	s_mov_b32 s22, exec_lo
	v_cmpx_ge_u64_e64 v[4:5], v[0:1]
	s_cbranch_execz .LBB6_54
; %bb.56:                               ;   in Loop: Header=BB6_55 Depth=3
	v_add_nc_u32_e32 v13, s21, v9
	v_add_nc_u32_e32 v14, s21, v12
	ds_read_b32 v13, v13 offset:4
	ds_read_b32 v15, v14
	s_waitcnt lgkmcnt(0)
	v_fma_f32 v13, -v11, v13, v15
	ds_write_b32 v14, v13
	s_branch .LBB6_54
.LBB6_57:                               ;   in Loop: Header=BB6_37 Depth=1
	s_or_b32 exec_lo, exec_lo, s15
	s_waitcnt lgkmcnt(0)
	s_barrier
	buffer_gl0_inv
	s_and_b32 vcc_lo, exec_lo, s13
	s_mov_b32 s5, -1
                                        ; implicit-def: $sgpr12_sgpr13
	s_cbranch_vccz .LBB6_36
.LBB6_58:                               ;   in Loop: Header=BB6_37 Depth=1
	s_add_u32 s14, s10, 1
	s_addc_u32 s15, s11, 0
	s_not_b64 s[12:13], s[10:11]
	s_cmp_eq_u64 s[14:15], s[36:37]
	s_mov_b64 s[10:11], s[14:15]
	s_cselect_b32 s5, -1, 0
	s_branch .LBB6_36
.LBB6_59:
	s_andn2_b32 vcc_lo, exec_lo, s50
	s_waitcnt_vscnt null, 0x0
	s_barrier
	buffer_gl0_inv
	s_cbranch_vccnz .LBB6_71
; %bb.60:
	s_mov_b32 s4, -1
	s_mov_b32 s5, s35
	s_and_saveexec_b32 s29, s25
	s_cbranch_execz .LBB6_75
; %bb.61:
	v_mad_u64_u32 v[2:3], null, s42, v41, 0
	v_mov_b32_e32 v1, 0
	s_mul_i32 s5, s45, s28
	s_mul_hi_u32 s9, s44, s28
	s_mul_i32 s4, s44, s28
	s_add_i32 s5, s9, s5
	s_lshl_b64 s[6:7], s[36:37], 1
	v_mov_b32_e32 v0, v3
	s_lshl_b64 s[10:11], s[40:41], 2
	s_lshl_b64 s[4:5], s[4:5], 2
	s_or_b32 s6, s6, 1
	s_add_u32 s9, s10, s4
	v_mad_u64_u32 v[3:4], null, s43, v41, v[0:1]
	s_addc_u32 s10, s11, s5
	v_add_lshl_u32 v4, v41, v43, 2
	s_lshl_b64 s[4:5], s[42:43], 2
	v_add_nc_u32_e32 v0, v41, v43
	s_add_u32 s4, s4, 4
	s_addc_u32 s5, s5, 0
	v_lshlrev_b64 v[2:3], 2, v[2:3]
	s_mul_i32 s5, s5, s48
	s_mov_b32 s8, 0
	s_mul_i32 s11, s4, s48
	s_lshl_b32 s12, s34, 2
                                        ; implicit-def: $sgpr13
	v_add_co_u32 v2, vcc_lo, s9, v2
	v_add_co_ci_u32_e64 v3, null, s10, v3, vcc_lo
	s_mul_hi_u32 s9, s4, s48
	v_add_co_u32 v2, vcc_lo, v2, v4
	v_add_co_ci_u32_e64 v3, null, 0, v3, vcc_lo
	v_mov_b32_e32 v4, v41
	v_add_co_u32 v2, vcc_lo, s38, v2
	v_add_co_ci_u32_e64 v3, null, s39, v3, vcc_lo
	v_mov_b32_e32 v5, v42
	s_add_i32 s10, s9, s5
                                        ; implicit-def: $sgpr9
	s_branch .LBB6_63
.LBB6_62:                               ;   in Loop: Header=BB6_63 Depth=1
	s_or_b32 exec_lo, exec_lo, s5
	s_and_b32 s4, exec_lo, s4
	s_or_b32 s8, s4, s8
	s_andn2_b32 s4, s9, exec_lo
	s_and_b32 s5, s13, exec_lo
	s_or_b32 s9, s4, s5
	s_andn2_b32 exec_lo, exec_lo, s8
	s_cbranch_execz .LBB6_72
.LBB6_63:                               ; =>This Loop Header: Depth=1
                                        ;     Child Loop BB6_66 Depth 2
	v_add_co_u32 v6, vcc_lo, v4, v43
	v_add_co_ci_u32_e64 v7, null, 0, v5, vcc_lo
	s_mov_b32 s15, -1
	s_mov_b32 s14, exec_lo
	v_cmpx_gt_i64_e64 s[36:37], v[6:7]
	s_cbranch_execz .LBB6_69
; %bb.64:                               ;   in Loop: Header=BB6_63 Depth=1
	v_sub_co_u32 v8, vcc_lo, s6, v4
	v_sub_co_ci_u32_e64 v9, null, s7, v5, vcc_lo
	s_mov_b32 s15, 0
	v_mul_lo_u32 v11, v8, v5
	v_cmp_ge_u64_e32 vcc_lo, v[0:1], v[4:5]
	v_mul_lo_u32 v10, v9, v4
	v_mad_u64_u32 v[8:9], null, v8, v4, 0
                                        ; implicit-def: $sgpr16
                                        ; implicit-def: $sgpr18
                                        ; implicit-def: $sgpr17
	v_add3_u32 v9, v9, v11, v10
	v_lshrrev_b32_e32 v9, 31, v9
	v_add_nc_u32_e32 v8, v8, v9
	v_lshrrev_b32_e32 v8, 1, v8
	v_add_nc_u32_e32 v8, v43, v8
	v_lshl_add_u32 v10, v8, 2, 0
	v_mov_b32_e32 v9, v3
	v_mov_b32_e32 v8, v2
	s_inst_prefetch 0x1
	s_branch .LBB6_66
	.p2align	6
.LBB6_65:                               ;   in Loop: Header=BB6_66 Depth=2
	s_or_b32 exec_lo, exec_lo, s19
	s_xor_b32 s4, s17, -1
	s_and_b32 s5, exec_lo, s18
	s_or_b32 s15, s5, s15
	s_andn2_b32 s5, s16, exec_lo
	s_and_b32 s4, s4, exec_lo
	s_or_b32 s16, s5, s4
	s_andn2_b32 exec_lo, exec_lo, s15
	s_cbranch_execz .LBB6_68
.LBB6_66:                               ;   Parent Loop BB6_63 Depth=1
                                        ; =>  This Inner Loop Header: Depth=2
	s_or_b32 s17, s17, exec_lo
	s_or_b32 s18, s18, exec_lo
	s_and_saveexec_b32 s19, vcc_lo
	s_cbranch_execz .LBB6_65
; %bb.67:                               ;   in Loop: Header=BB6_66 Depth=2
	ds_read_b32 v11, v10
	v_add_co_u32 v6, s4, v6, s34
	v_add_co_ci_u32_e64 v7, null, 0, v7, s4
	v_add_nc_u32_e32 v10, s12, v10
	s_andn2_b32 s17, s17, exec_lo
	v_cmp_le_i64_e64 s4, s[36:37], v[6:7]
	s_and_b32 s4, s4, exec_lo
	s_waitcnt lgkmcnt(0)
	global_store_dword v[8:9], v11, off
	v_add_co_u32 v8, s5, v8, s12
	v_add_co_ci_u32_e64 v9, null, 0, v9, s5
	s_andn2_b32 s5, s18, exec_lo
	s_or_b32 s18, s5, s4
	s_branch .LBB6_65
.LBB6_68:                               ;   in Loop: Header=BB6_63 Depth=1
	s_inst_prefetch 0x2
	s_or_b32 exec_lo, exec_lo, s15
	s_orn2_b32 s15, s16, exec_lo
.LBB6_69:                               ;   in Loop: Header=BB6_63 Depth=1
	s_or_b32 exec_lo, exec_lo, s14
	s_mov_b32 s4, -1
	s_or_b32 s13, s13, exec_lo
	s_and_saveexec_b32 s5, s15
	s_cbranch_execz .LBB6_62
; %bb.70:                               ;   in Loop: Header=BB6_63 Depth=1
	v_add_co_u32 v4, vcc_lo, v4, s48
	v_add_co_ci_u32_e64 v5, null, 0, v5, vcc_lo
	v_add_co_u32 v0, vcc_lo, v0, s48
	v_add_co_ci_u32_e64 v1, null, 0, v1, vcc_lo
	v_cmp_le_i64_e32 vcc_lo, s[36:37], v[4:5]
	v_add_co_u32 v2, s4, v2, s11
	v_add_co_ci_u32_e64 v3, null, s10, v3, s4
	s_andn2_b32 s13, s13, exec_lo
	s_orn2_b32 s4, vcc_lo, exec_lo
	s_branch .LBB6_62
.LBB6_71:
	s_mov_b32 s6, -1
	s_mov_b32 s4, 0
	s_mov_b32 s5, s35
	s_branch .LBB6_76
.LBB6_72:
	s_or_b32 exec_lo, exec_lo, s8
	s_mov_b32 s4, -1
	s_mov_b32 s5, s35
	s_and_saveexec_b32 s6, s9
	s_xor_b32 s46, exec_lo, s6
	s_cbranch_execz .LBB6_74
; %bb.73:
	s_add_u32 s8, s26, 56
	s_addc_u32 s9, s27, 0
	s_getpc_b64 s[4:5]
	s_add_u32 s4, s4, .str.10@rel32@lo+4
	s_addc_u32 s5, s5, .str.10@rel32@hi+12
	s_getpc_b64 s[6:7]
	s_add_u32 s6, s6, __PRETTY_FUNCTION__._ZN9rocsolver6v33100L9idx_lowerIlEET_S2_S2_S2_@rel32@lo+4
	s_addc_u32 s7, s7, __PRETTY_FUNCTION__._ZN9rocsolver6v33100L9idx_lowerIlEET_S2_S2_S2_@rel32@hi+12
	v_mov_b32_e32 v0, s4
	v_mov_b32_e32 v1, s5
	;; [unrolled: 1-line block ×5, first 2 shown]
	s_getpc_b64 s[10:11]
	s_add_u32 s10, s10, __assert_fail@rel32@lo+4
	s_addc_u32 s11, s11, __assert_fail@rel32@hi+12
	s_swappc_b64 s[30:31], s[10:11]
	s_or_b32 s5, s35, exec_lo
	s_xor_b32 s4, exec_lo, -1
.LBB6_74:
	s_or_b32 exec_lo, exec_lo, s46
	s_andn2_b32 s6, s35, exec_lo
	s_and_b32 s5, s5, exec_lo
	s_orn2_b32 s4, s4, exec_lo
	s_or_b32 s5, s6, s5
.LBB6_75:
	s_or_b32 exec_lo, exec_lo, s29
	s_mov_b32 s6, 0
.LBB6_76:
	s_and_b32 vcc_lo, exec_lo, s6
	s_cbranch_vccz .LBB6_84
; %bb.77:
	s_and_saveexec_b32 s8, s25
	s_cbranch_execz .LBB6_83
; %bb.78:
	v_mad_u64_u32 v[0:1], null, s42, v41, 0
	s_mul_i32 s4, s45, s28
	s_mul_hi_u32 s9, s44, s28
	s_lshl_b64 s[6:7], s[36:37], 1
	s_mul_i32 s10, s44, s28
	s_add_i32 s11, s9, s4
	s_lshl_b64 s[12:13], s[40:41], 2
	v_mad_u64_u32 v[1:2], null, s43, v41, v[1:2]
	s_lshl_b64 s[10:11], s[10:11], 2
	v_sub_co_u32 v3, s6, s6, v43
	v_sub_co_ci_u32_e64 v4, null, s7, 0, s6
	s_add_u32 s6, s12, s10
	v_lshlrev_b64 v[0:1], 2, v[0:1]
	v_lshlrev_b32_e32 v2, 2, v43
	s_addc_u32 s7, s13, s11
	s_mul_i32 s14, s43, s48
	s_mul_hi_u32 s4, s42, s48
	v_mov_b32_e32 v44, 0
	v_add_co_u32 v5, vcc_lo, s6, v0
	v_add_co_ci_u32_e64 v6, null, s7, v1, vcc_lo
	v_add_co_u32 v0, vcc_lo, v3, 1
	v_add_co_ci_u32_e64 v1, null, 0, v4, vcc_lo
	;; [unrolled: 2-line block ×3, first 2 shown]
	v_sub_nc_u32_e32 v10, v41, v43
	v_add_co_u32 v2, vcc_lo, s38, v2
	v_add_co_ci_u32_e64 v3, null, s39, v3, vcc_lo
	s_add_i32 s7, s4, s14
	s_mul_i32 s6, s42, s48
	s_mov_b32 s9, 0
	s_lshl_b64 s[6:7], s[6:7], 2
	s_lshl_b32 s10, s34, 2
	s_branch .LBB6_80
.LBB6_79:                               ;   in Loop: Header=BB6_80 Depth=1
	s_inst_prefetch 0x2
	s_or_b32 exec_lo, exec_lo, s11
	v_add_co_u32 v41, vcc_lo, v41, s48
	v_add_co_ci_u32_e64 v42, null, 0, v42, vcc_lo
	v_add_co_u32 v2, s4, v2, s6
	v_add_nc_u32_e32 v10, s48, v10
	v_cmp_le_i64_e32 vcc_lo, s[36:37], v[41:42]
	v_add_co_ci_u32_e64 v3, null, s7, v3, s4
	s_or_b32 s9, vcc_lo, s9
	s_andn2_b32 exec_lo, exec_lo, s9
	s_cbranch_execz .LBB6_83
.LBB6_80:                               ; =>This Loop Header: Depth=1
                                        ;     Child Loop BB6_82 Depth 2
	s_mov_b32 s11, exec_lo
	v_cmpx_ge_u64_e64 v[41:42], v[43:44]
	s_cbranch_execz .LBB6_79
; %bb.81:                               ;   in Loop: Header=BB6_80 Depth=1
	v_mov_b32_e32 v5, v3
	v_mov_b32_e32 v7, v1
	;; [unrolled: 1-line block ×7, first 2 shown]
	s_mov_b32 s12, 0
	s_inst_prefetch 0x1
	.p2align	6
.LBB6_82:                               ;   Parent Loop BB6_80 Depth=1
                                        ; =>  This Inner Loop Header: Depth=2
	v_mul_lo_u32 v14, v7, v8
	v_mul_lo_u32 v15, v6, v9
	v_mad_u64_u32 v[12:13], null, v6, v8, 0
	v_add_co_u32 v8, vcc_lo, v8, s34
	v_add_co_ci_u32_e64 v9, null, 0, v9, vcc_lo
	v_sub_co_u32 v6, vcc_lo, v6, s34
	v_add3_u32 v13, v13, v15, v14
	v_subrev_co_ci_u32_e64 v7, null, 0, v7, vcc_lo
	v_cmp_gt_u64_e32 vcc_lo, v[8:9], v[41:42]
	v_lshrrev_b32_e32 v13, 31, v13
	s_or_b32 s12, vcc_lo, s12
	v_add_nc_u32_e32 v12, v12, v13
	v_lshrrev_b32_e32 v12, 1, v12
	v_add_nc_u32_e32 v12, v11, v12
	v_subrev_nc_u32_e32 v11, s34, v11
	v_lshl_add_u32 v12, v12, 2, 0
	ds_read_b32 v12, v12
	s_waitcnt lgkmcnt(0)
	global_store_dword v[4:5], v12, off
	v_add_co_u32 v4, s4, v4, s10
	v_add_co_ci_u32_e64 v5, null, 0, v5, s4
	s_andn2_b32 exec_lo, exec_lo, s12
	s_cbranch_execnz .LBB6_82
	s_branch .LBB6_79
.LBB6_83:
	s_or_b32 exec_lo, exec_lo, s8
	s_mov_b32 s4, -1
.LBB6_84:
	s_and_saveexec_b32 s6, s4
	s_xor_b32 s4, exec_lo, s6
	s_cbranch_execz .LBB6_86
; %bb.85:
	s_waitcnt_vscnt null, 0x0
	s_barrier
	buffer_gl0_inv
.LBB6_86:
	s_or_b32 exec_lo, exec_lo, s4
	s_andn2_b32 s4, s35, exec_lo
	s_and_b32 s5, s5, exec_lo
	s_or_b32 s35, s4, s5
.LBB6_87:
	s_or_b32 exec_lo, exec_lo, s49
	s_branch .LBB6_89
.LBB6_88:
	s_add_u32 s8, s26, 56
	s_addc_u32 s9, s27, 0
	s_getpc_b64 s[4:5]
	s_add_u32 s4, s4, .str.4@rel32@lo+4
	s_addc_u32 s5, s5, .str.4@rel32@hi+12
	s_getpc_b64 s[6:7]
	s_add_u32 s6, s6, __PRETTY_FUNCTION__._ZN9rocsolver6v33100L18potf2_kernel_smallIfliPfEEvbT0_T2_lS3_lPT1_@rel32@lo+4
	s_addc_u32 s7, s7, __PRETTY_FUNCTION__._ZN9rocsolver6v33100L18potf2_kernel_smallIfliPfEEvbT0_T2_lS3_lPT1_@rel32@hi+12
	v_mov_b32_e32 v0, s4
	v_mov_b32_e32 v1, s5
	;; [unrolled: 1-line block ×5, first 2 shown]
	s_getpc_b64 s[10:11]
	s_add_u32 s10, s10, __assert_fail@rel32@lo+4
	s_addc_u32 s11, s11, __assert_fail@rel32@hi+12
	s_swappc_b64 s[30:31], s[10:11]
	s_or_b32 s35, s35, exec_lo
.LBB6_89:
	s_branch .LBB6_91
.LBB6_90:
	s_add_u32 s8, s26, 56
	s_addc_u32 s9, s27, 0
	s_getpc_b64 s[4:5]
	s_add_u32 s4, s4, .str.3@rel32@lo+4
	s_addc_u32 s5, s5, .str.3@rel32@hi+12
	s_getpc_b64 s[6:7]
	s_add_u32 s6, s6, __PRETTY_FUNCTION__._ZN9rocsolver6v33100L18potf2_kernel_smallIfliPfEEvbT0_T2_lS3_lPT1_@rel32@lo+4
	s_addc_u32 s7, s7, __PRETTY_FUNCTION__._ZN9rocsolver6v33100L18potf2_kernel_smallIfliPfEEvbT0_T2_lS3_lPT1_@rel32@hi+12
	v_mov_b32_e32 v0, s4
	v_mov_b32_e32 v1, s5
	;; [unrolled: 1-line block ×5, first 2 shown]
	s_getpc_b64 s[10:11]
	s_add_u32 s10, s10, __assert_fail@rel32@lo+4
	s_addc_u32 s11, s11, __assert_fail@rel32@hi+12
	s_swappc_b64 s[30:31], s[10:11]
	s_or_b32 s35, s35, exec_lo
.LBB6_91:
	s_branch .LBB6_93
.LBB6_92:
	s_add_u32 s8, s26, 56
	s_addc_u32 s9, s27, 0
	s_getpc_b64 s[4:5]
	s_add_u32 s4, s4, .str.2@rel32@lo+4
	s_addc_u32 s5, s5, .str.2@rel32@hi+12
	s_getpc_b64 s[6:7]
	s_add_u32 s6, s6, __PRETTY_FUNCTION__._ZN9rocsolver6v33100L18potf2_kernel_smallIfliPfEEvbT0_T2_lS3_lPT1_@rel32@lo+4
	s_addc_u32 s7, s7, __PRETTY_FUNCTION__._ZN9rocsolver6v33100L18potf2_kernel_smallIfliPfEEvbT0_T2_lS3_lPT1_@rel32@hi+12
	v_mov_b32_e32 v0, s4
	v_mov_b32_e32 v1, s5
	;; [unrolled: 1-line block ×5, first 2 shown]
	s_getpc_b64 s[10:11]
	s_add_u32 s10, s10, __assert_fail@rel32@lo+4
	s_addc_u32 s11, s11, __assert_fail@rel32@hi+12
	s_swappc_b64 s[30:31], s[10:11]
	s_or_b32 s35, s35, exec_lo
.LBB6_93:
	s_and_saveexec_b32 s4, s35
; %bb.94:
	; divergent unreachable
; %bb.95:
	s_endpgm
	.section	.rodata,"a",@progbits
	.p2align	6, 0x0
	.amdhsa_kernel _ZN9rocsolver6v33100L18potf2_kernel_smallIfliPfEEvbT0_T2_lS3_lPT1_
		.amdhsa_group_segment_fixed_size 0
		.amdhsa_private_segment_fixed_size 64
		.amdhsa_kernarg_size 312
		.amdhsa_user_sgpr_count 8
		.amdhsa_user_sgpr_private_segment_buffer 1
		.amdhsa_user_sgpr_dispatch_ptr 0
		.amdhsa_user_sgpr_queue_ptr 0
		.amdhsa_user_sgpr_kernarg_segment_ptr 1
		.amdhsa_user_sgpr_dispatch_id 0
		.amdhsa_user_sgpr_flat_scratch_init 1
		.amdhsa_user_sgpr_private_segment_size 0
		.amdhsa_wavefront_size32 1
		.amdhsa_uses_dynamic_stack 0
		.amdhsa_system_sgpr_private_segment_wavefront_offset 1
		.amdhsa_system_sgpr_workgroup_id_x 1
		.amdhsa_system_sgpr_workgroup_id_y 0
		.amdhsa_system_sgpr_workgroup_id_z 1
		.amdhsa_system_sgpr_workgroup_info 0
		.amdhsa_system_vgpr_workitem_id 2
		.amdhsa_next_free_vgpr 50
		.amdhsa_next_free_sgpr 52
		.amdhsa_reserve_vcc 1
		.amdhsa_reserve_flat_scratch 1
		.amdhsa_float_round_mode_32 0
		.amdhsa_float_round_mode_16_64 0
		.amdhsa_float_denorm_mode_32 3
		.amdhsa_float_denorm_mode_16_64 3
		.amdhsa_dx10_clamp 1
		.amdhsa_ieee_mode 1
		.amdhsa_fp16_overflow 0
		.amdhsa_workgroup_processor_mode 1
		.amdhsa_memory_ordered 1
		.amdhsa_forward_progress 1
		.amdhsa_shared_vgpr_count 0
		.amdhsa_exception_fp_ieee_invalid_op 0
		.amdhsa_exception_fp_denorm_src 0
		.amdhsa_exception_fp_ieee_div_zero 0
		.amdhsa_exception_fp_ieee_overflow 0
		.amdhsa_exception_fp_ieee_underflow 0
		.amdhsa_exception_fp_ieee_inexact 0
		.amdhsa_exception_int_div_zero 0
	.end_amdhsa_kernel
	.section	.text._ZN9rocsolver6v33100L18potf2_kernel_smallIfliPfEEvbT0_T2_lS3_lPT1_,"axG",@progbits,_ZN9rocsolver6v33100L18potf2_kernel_smallIfliPfEEvbT0_T2_lS3_lPT1_,comdat
.Lfunc_end6:
	.size	_ZN9rocsolver6v33100L18potf2_kernel_smallIfliPfEEvbT0_T2_lS3_lPT1_, .Lfunc_end6-_ZN9rocsolver6v33100L18potf2_kernel_smallIfliPfEEvbT0_T2_lS3_lPT1_
                                        ; -- End function
	.set _ZN9rocsolver6v33100L18potf2_kernel_smallIfliPfEEvbT0_T2_lS3_lPT1_.num_vgpr, max(46, .L__assert_fail.num_vgpr)
	.set _ZN9rocsolver6v33100L18potf2_kernel_smallIfliPfEEvbT0_T2_lS3_lPT1_.num_agpr, max(0, .L__assert_fail.num_agpr)
	.set _ZN9rocsolver6v33100L18potf2_kernel_smallIfliPfEEvbT0_T2_lS3_lPT1_.numbered_sgpr, max(52, .L__assert_fail.numbered_sgpr)
	.set _ZN9rocsolver6v33100L18potf2_kernel_smallIfliPfEEvbT0_T2_lS3_lPT1_.num_named_barrier, max(0, .L__assert_fail.num_named_barrier)
	.set _ZN9rocsolver6v33100L18potf2_kernel_smallIfliPfEEvbT0_T2_lS3_lPT1_.private_seg_size, 0+max(.L__assert_fail.private_seg_size)
	.set _ZN9rocsolver6v33100L18potf2_kernel_smallIfliPfEEvbT0_T2_lS3_lPT1_.uses_vcc, or(1, .L__assert_fail.uses_vcc)
	.set _ZN9rocsolver6v33100L18potf2_kernel_smallIfliPfEEvbT0_T2_lS3_lPT1_.uses_flat_scratch, or(1, .L__assert_fail.uses_flat_scratch)
	.set _ZN9rocsolver6v33100L18potf2_kernel_smallIfliPfEEvbT0_T2_lS3_lPT1_.has_dyn_sized_stack, or(0, .L__assert_fail.has_dyn_sized_stack)
	.set _ZN9rocsolver6v33100L18potf2_kernel_smallIfliPfEEvbT0_T2_lS3_lPT1_.has_recursion, or(0, .L__assert_fail.has_recursion)
	.set _ZN9rocsolver6v33100L18potf2_kernel_smallIfliPfEEvbT0_T2_lS3_lPT1_.has_indirect_call, or(0, .L__assert_fail.has_indirect_call)
	.section	.AMDGPU.csdata,"",@progbits
; Kernel info:
; codeLenInByte = 4492
; TotalNumSgprs: 54
; NumVgprs: 50
; ScratchSize: 64
; MemoryBound: 0
; FloatMode: 240
; IeeeMode: 1
; LDSByteSize: 0 bytes/workgroup (compile time only)
; SGPRBlocks: 0
; VGPRBlocks: 6
; NumSGPRsForWavesPerEU: 54
; NumVGPRsForWavesPerEU: 50
; Occupancy: 16
; WaveLimiterHint : 1
; COMPUTE_PGM_RSRC2:SCRATCH_EN: 1
; COMPUTE_PGM_RSRC2:USER_SGPR: 8
; COMPUTE_PGM_RSRC2:TRAP_HANDLER: 0
; COMPUTE_PGM_RSRC2:TGID_X_EN: 1
; COMPUTE_PGM_RSRC2:TGID_Y_EN: 0
; COMPUTE_PGM_RSRC2:TGID_Z_EN: 1
; COMPUTE_PGM_RSRC2:TIDIG_COMP_CNT: 2
	.text
	.p2alignl 6, 3214868480
	.fill 48, 4, 3214868480
	.section	.AMDGPU.gpr_maximums,"",@progbits
	.set amdgpu.max_num_vgpr, 50
	.set amdgpu.max_num_agpr, 0
	.set amdgpu.max_num_sgpr, 34
	.text
	.type	__const.__assert_fail.fmt,@object ; @__const.__assert_fail.fmt
	.section	.rodata.str1.16,"aMS",@progbits,1
	.p2align	4, 0x0
__const.__assert_fail.fmt:
	.asciz	"%s:%u: %s: Device-side assertion `%s' failed.\n"
	.size	__const.__assert_fail.fmt, 47

	.type	.str,@object                    ; @.str
	.section	.rodata.str1.1,"aMS",@progbits,1
.str:
	.asciz	"hipBlockDim_z == 1"
	.size	.str, 19

	.type	.str.1,@object                  ; @.str.1
.str.1:
	.asciz	"/root/src/amdgpu-assembly/repos/ROCm__rocSOLVER/library/src/specialized/roclapack_potf2_specialized_kernels.hpp"
	.size	.str.1, 112

	.type	__PRETTY_FUNCTION__._ZN9rocsolver6v33100L18potf2_kernel_smallIfiiPfEEvbT0_T2_lS3_lPT1_,@object ; @__PRETTY_FUNCTION__._ZN9rocsolver6v33100L18potf2_kernel_smallIfiiPfEEvbT0_T2_lS3_lPT1_
__PRETTY_FUNCTION__._ZN9rocsolver6v33100L18potf2_kernel_smallIfiiPfEEvbT0_T2_lS3_lPT1_:
	.asciz	"void rocsolver::potf2_kernel_small(const bool, const I, U, const rocblas_stride, const I, const rocblas_stride, INFO *const) [T = float, I = int, INFO = int, U = float *]"
	.size	__PRETTY_FUNCTION__._ZN9rocsolver6v33100L18potf2_kernel_smallIfiiPfEEvbT0_T2_lS3_lPT1_, 171

	.type	.str.2,@object                  ; @.str.2
.str.2:
	.asciz	"AA != nullptr"
	.size	.str.2, 14

	.type	.str.3,@object                  ; @.str.3
.str.3:
	.asciz	"info != nullptr"
	.size	.str.3, 16

	.type	.str.4,@object                  ; @.str.4
.str.4:
	.asciz	"A != nullptr"
	.size	.str.4, 13

	.type	.str.8,@object                  ; @.str.8
.str.8:
	.asciz	"(0 <= i) && (i <= (n - 1))"
	.size	.str.8, 27

	.type	__PRETTY_FUNCTION__._ZN9rocsolver6v33100L9idx_lowerIiEET_S2_S2_S2_,@object ; @__PRETTY_FUNCTION__._ZN9rocsolver6v33100L9idx_lowerIiEET_S2_S2_S2_
__PRETTY_FUNCTION__._ZN9rocsolver6v33100L9idx_lowerIiEET_S2_S2_S2_:
	.asciz	"I rocsolver::idx_lower(I, I, I) [I = int]"
	.size	__PRETTY_FUNCTION__._ZN9rocsolver6v33100L9idx_lowerIiEET_S2_S2_S2_, 42

	.type	.str.9,@object                  ; @.str.9
.str.9:
	.asciz	"(0 <= j) && (j <= (n - 1))"
	.size	.str.9, 27

	.type	.str.10,@object                 ; @.str.10
.str.10:
	.asciz	"i >= j"
	.size	.str.10, 7

	.type	__PRETTY_FUNCTION__._ZN9rocsolver6v33100L18potf2_kernel_smallIfiiPKPfEEvbT0_T2_lS5_lPT1_,@object ; @__PRETTY_FUNCTION__._ZN9rocsolver6v33100L18potf2_kernel_smallIfiiPKPfEEvbT0_T2_lS5_lPT1_
__PRETTY_FUNCTION__._ZN9rocsolver6v33100L18potf2_kernel_smallIfiiPKPfEEvbT0_T2_lS5_lPT1_:
	.asciz	"void rocsolver::potf2_kernel_small(const bool, const I, U, const rocblas_stride, const I, const rocblas_stride, INFO *const) [T = float, I = int, INFO = int, U = float *const *]"
	.size	__PRETTY_FUNCTION__._ZN9rocsolver6v33100L18potf2_kernel_smallIfiiPKPfEEvbT0_T2_lS5_lPT1_, 178

	.type	__PRETTY_FUNCTION__._ZN9rocsolver6v33100L18potf2_kernel_smallIfllPfEEvbT0_T2_lS3_lPT1_,@object ; @__PRETTY_FUNCTION__._ZN9rocsolver6v33100L18potf2_kernel_smallIfllPfEEvbT0_T2_lS3_lPT1_
__PRETTY_FUNCTION__._ZN9rocsolver6v33100L18potf2_kernel_smallIfllPfEEvbT0_T2_lS3_lPT1_:
	.asciz	"void rocsolver::potf2_kernel_small(const bool, const I, U, const rocblas_stride, const I, const rocblas_stride, INFO *const) [T = float, I = long, INFO = long, U = float *]"
	.size	__PRETTY_FUNCTION__._ZN9rocsolver6v33100L18potf2_kernel_smallIfllPfEEvbT0_T2_lS3_lPT1_, 173

	.type	__PRETTY_FUNCTION__._ZN9rocsolver6v33100L9idx_lowerIlEET_S2_S2_S2_,@object ; @__PRETTY_FUNCTION__._ZN9rocsolver6v33100L9idx_lowerIlEET_S2_S2_S2_
__PRETTY_FUNCTION__._ZN9rocsolver6v33100L9idx_lowerIlEET_S2_S2_S2_:
	.asciz	"I rocsolver::idx_lower(I, I, I) [I = long]"
	.size	__PRETTY_FUNCTION__._ZN9rocsolver6v33100L9idx_lowerIlEET_S2_S2_S2_, 43

	.type	__PRETTY_FUNCTION__._ZN9rocsolver6v33100L18potf2_kernel_smallIfllPKPfEEvbT0_T2_lS5_lPT1_,@object ; @__PRETTY_FUNCTION__._ZN9rocsolver6v33100L18potf2_kernel_smallIfllPKPfEEvbT0_T2_lS5_lPT1_
__PRETTY_FUNCTION__._ZN9rocsolver6v33100L18potf2_kernel_smallIfllPKPfEEvbT0_T2_lS5_lPT1_:
	.asciz	"void rocsolver::potf2_kernel_small(const bool, const I, U, const rocblas_stride, const I, const rocblas_stride, INFO *const) [T = float, I = long, INFO = long, U = float *const *]"
	.size	__PRETTY_FUNCTION__._ZN9rocsolver6v33100L18potf2_kernel_smallIfllPKPfEEvbT0_T2_lS5_lPT1_, 180

	.type	__PRETTY_FUNCTION__._ZN9rocsolver6v33100L18potf2_kernel_smallIfliPfEEvbT0_T2_lS3_lPT1_,@object ; @__PRETTY_FUNCTION__._ZN9rocsolver6v33100L18potf2_kernel_smallIfliPfEEvbT0_T2_lS3_lPT1_
__PRETTY_FUNCTION__._ZN9rocsolver6v33100L18potf2_kernel_smallIfliPfEEvbT0_T2_lS3_lPT1_:
	.asciz	"void rocsolver::potf2_kernel_small(const bool, const I, U, const rocblas_stride, const I, const rocblas_stride, INFO *const) [T = float, I = long, INFO = int, U = float *]"
	.size	__PRETTY_FUNCTION__._ZN9rocsolver6v33100L18potf2_kernel_smallIfliPfEEvbT0_T2_lS3_lPT1_, 172

	.type	__hip_cuid_883aba465ae7b8cb,@object ; @__hip_cuid_883aba465ae7b8cb
	.section	.bss,"aw",@nobits
	.globl	__hip_cuid_883aba465ae7b8cb
__hip_cuid_883aba465ae7b8cb:
	.byte	0                               ; 0x0
	.size	__hip_cuid_883aba465ae7b8cb, 1

	.ident	"AMD clang version 22.0.0git (https://github.com/RadeonOpenCompute/llvm-project roc-7.2.4 26084 f58b06dce1f9c15707c5f808fd002e18c2accf7e)"
	.section	".note.GNU-stack","",@progbits
	.addrsig
	.addrsig_sym __hip_cuid_883aba465ae7b8cb
	.amdgpu_metadata
---
amdhsa.kernels:
  - .args:
      - .offset:         0
        .size:           1
        .value_kind:     by_value
      - .offset:         4
        .size:           4
        .value_kind:     by_value
      - .address_space:  global
        .offset:         8
        .size:           8
        .value_kind:     global_buffer
      - .offset:         16
        .size:           8
        .value_kind:     by_value
      - .offset:         24
        .size:           4
        .value_kind:     by_value
      - .offset:         32
        .size:           8
        .value_kind:     by_value
      - .address_space:  global
        .offset:         40
        .size:           8
        .value_kind:     global_buffer
      - .offset:         48
        .size:           4
        .value_kind:     hidden_block_count_x
      - .offset:         52
        .size:           4
        .value_kind:     hidden_block_count_y
      - .offset:         56
        .size:           4
        .value_kind:     hidden_block_count_z
      - .offset:         60
        .size:           2
        .value_kind:     hidden_group_size_x
      - .offset:         62
        .size:           2
        .value_kind:     hidden_group_size_y
      - .offset:         64
        .size:           2
        .value_kind:     hidden_group_size_z
      - .offset:         66
        .size:           2
        .value_kind:     hidden_remainder_x
      - .offset:         68
        .size:           2
        .value_kind:     hidden_remainder_y
      - .offset:         70
        .size:           2
        .value_kind:     hidden_remainder_z
      - .offset:         88
        .size:           8
        .value_kind:     hidden_global_offset_x
      - .offset:         96
        .size:           8
        .value_kind:     hidden_global_offset_y
      - .offset:         104
        .size:           8
        .value_kind:     hidden_global_offset_z
      - .offset:         112
        .size:           2
        .value_kind:     hidden_grid_dims
      - .offset:         128
        .size:           8
        .value_kind:     hidden_hostcall_buffer
      - .offset:         168
        .size:           4
        .value_kind:     hidden_dynamic_lds_size
    .group_segment_fixed_size: 0
    .kernarg_segment_align: 8
    .kernarg_segment_size: 304
    .language:       OpenCL C
    .language_version:
      - 2
      - 0
    .max_flat_workgroup_size: 1024
    .name:           _ZN9rocsolver6v33100L18potf2_kernel_smallIfiiPfEEvbT0_T2_lS3_lPT1_
    .private_segment_fixed_size: 64
    .sgpr_count:     57
    .sgpr_spill_count: 0
    .symbol:         _ZN9rocsolver6v33100L18potf2_kernel_smallIfiiPfEEvbT0_T2_lS3_lPT1_.kd
    .uniform_work_group_size: 1
    .uses_dynamic_stack: false
    .vgpr_count:     50
    .vgpr_spill_count: 0
    .wavefront_size: 32
    .workgroup_processor_mode: 1
  - .args:
      - .offset:         0
        .size:           1
        .value_kind:     by_value
      - .offset:         4
        .size:           4
        .value_kind:     by_value
      - .address_space:  global
        .offset:         8
        .size:           8
        .value_kind:     global_buffer
      - .offset:         16
        .size:           8
        .value_kind:     by_value
      - .offset:         24
        .size:           4
        .value_kind:     by_value
      - .offset:         32
        .size:           8
        .value_kind:     by_value
      - .address_space:  global
        .offset:         40
        .size:           8
        .value_kind:     global_buffer
      - .offset:         48
        .size:           4
        .value_kind:     hidden_block_count_x
      - .offset:         52
        .size:           4
        .value_kind:     hidden_block_count_y
      - .offset:         56
        .size:           4
        .value_kind:     hidden_block_count_z
      - .offset:         60
        .size:           2
        .value_kind:     hidden_group_size_x
      - .offset:         62
        .size:           2
        .value_kind:     hidden_group_size_y
      - .offset:         64
        .size:           2
        .value_kind:     hidden_group_size_z
      - .offset:         66
        .size:           2
        .value_kind:     hidden_remainder_x
      - .offset:         68
        .size:           2
        .value_kind:     hidden_remainder_y
      - .offset:         70
        .size:           2
        .value_kind:     hidden_remainder_z
      - .offset:         88
        .size:           8
        .value_kind:     hidden_global_offset_x
      - .offset:         96
        .size:           8
        .value_kind:     hidden_global_offset_y
      - .offset:         104
        .size:           8
        .value_kind:     hidden_global_offset_z
      - .offset:         112
        .size:           2
        .value_kind:     hidden_grid_dims
      - .offset:         128
        .size:           8
        .value_kind:     hidden_hostcall_buffer
      - .offset:         168
        .size:           4
        .value_kind:     hidden_dynamic_lds_size
    .group_segment_fixed_size: 0
    .kernarg_segment_align: 8
    .kernarg_segment_size: 304
    .language:       OpenCL C
    .language_version:
      - 2
      - 0
    .max_flat_workgroup_size: 1024
    .name:           _ZN9rocsolver6v33100L18potf2_kernel_smallIfiiPKPfEEvbT0_T2_lS5_lPT1_
    .private_segment_fixed_size: 64
    .sgpr_count:     51
    .sgpr_spill_count: 0
    .symbol:         _ZN9rocsolver6v33100L18potf2_kernel_smallIfiiPKPfEEvbT0_T2_lS5_lPT1_.kd
    .uniform_work_group_size: 1
    .uses_dynamic_stack: false
    .vgpr_count:     50
    .vgpr_spill_count: 0
    .wavefront_size: 32
    .workgroup_processor_mode: 1
  - .args:
      - .offset:         0
        .size:           1
        .value_kind:     by_value
      - .offset:         8
        .size:           8
        .value_kind:     by_value
      - .address_space:  global
        .offset:         16
        .size:           8
        .value_kind:     global_buffer
      - .offset:         24
        .size:           8
        .value_kind:     by_value
      - .offset:         32
        .size:           8
        .value_kind:     by_value
      - .offset:         40
        .size:           8
        .value_kind:     by_value
      - .address_space:  global
        .offset:         48
        .size:           8
        .value_kind:     global_buffer
      - .offset:         56
        .size:           4
        .value_kind:     hidden_block_count_x
      - .offset:         60
        .size:           4
        .value_kind:     hidden_block_count_y
      - .offset:         64
        .size:           4
        .value_kind:     hidden_block_count_z
      - .offset:         68
        .size:           2
        .value_kind:     hidden_group_size_x
      - .offset:         70
        .size:           2
        .value_kind:     hidden_group_size_y
      - .offset:         72
        .size:           2
        .value_kind:     hidden_group_size_z
      - .offset:         74
        .size:           2
        .value_kind:     hidden_remainder_x
      - .offset:         76
        .size:           2
        .value_kind:     hidden_remainder_y
      - .offset:         78
        .size:           2
        .value_kind:     hidden_remainder_z
      - .offset:         96
        .size:           8
        .value_kind:     hidden_global_offset_x
      - .offset:         104
        .size:           8
        .value_kind:     hidden_global_offset_y
      - .offset:         112
        .size:           8
        .value_kind:     hidden_global_offset_z
      - .offset:         120
        .size:           2
        .value_kind:     hidden_grid_dims
      - .offset:         136
        .size:           8
        .value_kind:     hidden_hostcall_buffer
      - .offset:         176
        .size:           4
        .value_kind:     hidden_dynamic_lds_size
    .group_segment_fixed_size: 0
    .kernarg_segment_align: 8
    .kernarg_segment_size: 312
    .language:       OpenCL C
    .language_version:
      - 2
      - 0
    .max_flat_workgroup_size: 1024
    .name:           _ZN9rocsolver6v33100L18potf2_kernel_smallIfllPfEEvbT0_T2_lS3_lPT1_
    .private_segment_fixed_size: 64
    .sgpr_count:     54
    .sgpr_spill_count: 0
    .symbol:         _ZN9rocsolver6v33100L18potf2_kernel_smallIfllPfEEvbT0_T2_lS3_lPT1_.kd
    .uniform_work_group_size: 1
    .uses_dynamic_stack: false
    .vgpr_count:     50
    .vgpr_spill_count: 0
    .wavefront_size: 32
    .workgroup_processor_mode: 1
  - .args:
      - .offset:         0
        .size:           1
        .value_kind:     by_value
      - .offset:         8
        .size:           8
        .value_kind:     by_value
      - .address_space:  global
        .offset:         16
        .size:           8
        .value_kind:     global_buffer
      - .offset:         24
        .size:           8
        .value_kind:     by_value
      - .offset:         32
        .size:           8
        .value_kind:     by_value
      - .offset:         40
        .size:           8
        .value_kind:     by_value
      - .address_space:  global
        .offset:         48
        .size:           8
        .value_kind:     global_buffer
      - .offset:         56
        .size:           4
        .value_kind:     hidden_block_count_x
      - .offset:         60
        .size:           4
        .value_kind:     hidden_block_count_y
      - .offset:         64
        .size:           4
        .value_kind:     hidden_block_count_z
      - .offset:         68
        .size:           2
        .value_kind:     hidden_group_size_x
      - .offset:         70
        .size:           2
        .value_kind:     hidden_group_size_y
      - .offset:         72
        .size:           2
        .value_kind:     hidden_group_size_z
      - .offset:         74
        .size:           2
        .value_kind:     hidden_remainder_x
      - .offset:         76
        .size:           2
        .value_kind:     hidden_remainder_y
      - .offset:         78
        .size:           2
        .value_kind:     hidden_remainder_z
      - .offset:         96
        .size:           8
        .value_kind:     hidden_global_offset_x
      - .offset:         104
        .size:           8
        .value_kind:     hidden_global_offset_y
      - .offset:         112
        .size:           8
        .value_kind:     hidden_global_offset_z
      - .offset:         120
        .size:           2
        .value_kind:     hidden_grid_dims
      - .offset:         136
        .size:           8
        .value_kind:     hidden_hostcall_buffer
      - .offset:         176
        .size:           4
        .value_kind:     hidden_dynamic_lds_size
    .group_segment_fixed_size: 0
    .kernarg_segment_align: 8
    .kernarg_segment_size: 312
    .language:       OpenCL C
    .language_version:
      - 2
      - 0
    .max_flat_workgroup_size: 1024
    .name:           _ZN9rocsolver6v33100L18potf2_kernel_smallIfllPKPfEEvbT0_T2_lS5_lPT1_
    .private_segment_fixed_size: 64
    .sgpr_count:     50
    .sgpr_spill_count: 0
    .symbol:         _ZN9rocsolver6v33100L18potf2_kernel_smallIfllPKPfEEvbT0_T2_lS5_lPT1_.kd
    .uniform_work_group_size: 1
    .uses_dynamic_stack: false
    .vgpr_count:     50
    .vgpr_spill_count: 0
    .wavefront_size: 32
    .workgroup_processor_mode: 1
  - .args:
      - .offset:         0
        .size:           1
        .value_kind:     by_value
      - .offset:         8
        .size:           8
        .value_kind:     by_value
      - .address_space:  global
        .offset:         16
        .size:           8
        .value_kind:     global_buffer
      - .offset:         24
        .size:           8
        .value_kind:     by_value
      - .offset:         32
        .size:           8
        .value_kind:     by_value
      - .offset:         40
        .size:           8
        .value_kind:     by_value
      - .address_space:  global
        .offset:         48
        .size:           8
        .value_kind:     global_buffer
      - .offset:         56
        .size:           4
        .value_kind:     hidden_block_count_x
      - .offset:         60
        .size:           4
        .value_kind:     hidden_block_count_y
      - .offset:         64
        .size:           4
        .value_kind:     hidden_block_count_z
      - .offset:         68
        .size:           2
        .value_kind:     hidden_group_size_x
      - .offset:         70
        .size:           2
        .value_kind:     hidden_group_size_y
      - .offset:         72
        .size:           2
        .value_kind:     hidden_group_size_z
      - .offset:         74
        .size:           2
        .value_kind:     hidden_remainder_x
      - .offset:         76
        .size:           2
        .value_kind:     hidden_remainder_y
      - .offset:         78
        .size:           2
        .value_kind:     hidden_remainder_z
      - .offset:         96
        .size:           8
        .value_kind:     hidden_global_offset_x
      - .offset:         104
        .size:           8
        .value_kind:     hidden_global_offset_y
      - .offset:         112
        .size:           8
        .value_kind:     hidden_global_offset_z
      - .offset:         120
        .size:           2
        .value_kind:     hidden_grid_dims
      - .offset:         136
        .size:           8
        .value_kind:     hidden_hostcall_buffer
      - .offset:         176
        .size:           4
        .value_kind:     hidden_dynamic_lds_size
    .group_segment_fixed_size: 0
    .kernarg_segment_align: 8
    .kernarg_segment_size: 312
    .language:       OpenCL C
    .language_version:
      - 2
      - 0
    .max_flat_workgroup_size: 1024
    .name:           _ZN9rocsolver6v33100L18potf2_kernel_smallIfliPfEEvbT0_T2_lS3_lPT1_
    .private_segment_fixed_size: 64
    .sgpr_count:     54
    .sgpr_spill_count: 0
    .symbol:         _ZN9rocsolver6v33100L18potf2_kernel_smallIfliPfEEvbT0_T2_lS3_lPT1_.kd
    .uniform_work_group_size: 1
    .uses_dynamic_stack: false
    .vgpr_count:     50
    .vgpr_spill_count: 0
    .wavefront_size: 32
    .workgroup_processor_mode: 1
amdhsa.target:   amdgcn-amd-amdhsa--gfx1030
amdhsa.version:
  - 1
  - 2
...

	.end_amdgpu_metadata
